;; amdgpu-corpus repo=ROCm/rocFFT kind=compiled arch=gfx1100 opt=O3
	.text
	.amdgcn_target "amdgcn-amd-amdhsa--gfx1100"
	.amdhsa_code_object_version 6
	.protected	bluestein_single_back_len1875_dim1_dp_op_CI_CI ; -- Begin function bluestein_single_back_len1875_dim1_dp_op_CI_CI
	.globl	bluestein_single_back_len1875_dim1_dp_op_CI_CI
	.p2align	8
	.type	bluestein_single_back_len1875_dim1_dp_op_CI_CI,@function
bluestein_single_back_len1875_dim1_dp_op_CI_CI: ; @bluestein_single_back_len1875_dim1_dp_op_CI_CI
; %bb.0:
	s_load_b128 s[16:19], s[0:1], 0x28
	v_mul_u32_u24_e32 v1, 0x20d, v0
	v_mov_b32_e32 v3, 0
	s_mov_b32 s2, exec_lo
	s_delay_alu instid0(VALU_DEP_2) | instskip(NEXT) | instid1(VALU_DEP_1)
	v_lshrrev_b32_e32 v60, 16, v1
	v_lshl_add_u32 v2, s15, 1, v60
	s_waitcnt lgkmcnt(0)
	s_delay_alu instid0(VALU_DEP_1)
	v_cmpx_gt_u64_e64 s[16:17], v[2:3]
	s_cbranch_execz .LBB0_2
; %bb.1:
	s_clause 0x1
	s_load_b128 s[4:7], s[0:1], 0x18
	s_load_b128 s[8:11], s[0:1], 0x0
	v_mul_lo_u16 v1, 0x7d, v60
	v_mov_b32_e32 v6, v2
	s_mov_b32 s17, 0xbfee6f0e
	s_load_b64 s[0:1], s[0:1], 0x38
	s_delay_alu instid0(VALU_DEP_2)
	v_sub_nc_u16 v156, v0, v1
	scratch_store_b64 off, v[6:7], off      ; 8-byte Folded Spill
	v_and_b32_e32 v134, 0xffff, v156
	v_and_b32_e32 v157, 0xff, v156
	s_waitcnt lgkmcnt(0)
	s_load_b128 s[12:15], s[4:5], 0x0
	s_waitcnt lgkmcnt(0)
	v_mad_u64_u32 v[0:1], null, s14, v2, 0
	v_mad_u64_u32 v[2:3], null, s12, v134, 0
	s_mul_hi_u32 s4, s12, 0x1770
	s_mul_i32 s3, s12, 0x1770
	s_delay_alu instid0(VALU_DEP_1) | instskip(SKIP_3) | instid1(VALU_DEP_1)
	v_mad_u64_u32 v[4:5], null, s15, v6, v[1:2]
	s_mov_b32 s14, 0x134454ff
	s_mov_b32 s15, 0x3fee6f0e
	;; [unrolled: 1-line block ×3, first 2 shown]
	v_mov_b32_e32 v1, v4
	v_mad_u64_u32 v[5:6], null, s13, v134, v[3:4]
	v_lshlrev_b32_e32 v121, 4, v134
	v_add_co_u32 v182, null, 0x7d, v134
	s_delay_alu instid0(VALU_DEP_4) | instskip(SKIP_1) | instid1(VALU_DEP_3)
	v_lshlrev_b64 v[0:1], 4, v[0:1]
	v_add_co_u32 v181, null, 0xfa, v134
	v_dual_mov_b32 v3, v5 :: v_dual_and_b32 v158, 0xff, v182
	s_delay_alu instid0(VALU_DEP_3) | instskip(NEXT) | instid1(VALU_DEP_2)
	v_add_co_u32 v0, vcc_lo, s18, v0
	v_lshlrev_b64 v[2:3], 4, v[2:3]
	v_add_co_ci_u32_e32 v1, vcc_lo, s19, v1, vcc_lo
	v_and_b32_e32 v172, 0xffff, v181
	s_mov_b32 s19, 0xbfebb67a
	s_delay_alu instid0(VALU_DEP_3) | instskip(NEXT) | instid1(VALU_DEP_3)
	v_add_co_u32 v0, vcc_lo, v0, v2
	v_add_co_ci_u32_e32 v1, vcc_lo, v1, v3, vcc_lo
	global_load_b128 v[16:19], v121, s[8:9]
	global_load_b128 v[8:11], v[0:1], off
	s_waitcnt vmcnt(1)
	v_dual_mov_b32 v27, v19 :: v_dual_mov_b32 v24, v16
	v_mov_b32_e32 v26, v18
	v_add_co_u32 v231, s2, s8, v121
	s_delay_alu instid0(VALU_DEP_1) | instskip(SKIP_1) | instid1(VALU_DEP_2)
	v_add_co_ci_u32_e64 v232, null, s9, 0, s2
	s_mul_i32 s2, s13, 0x1770
	v_add_co_u32 v2, vcc_lo, 0x1000, v231
	s_delay_alu instid0(VALU_DEP_2)
	v_add_co_ci_u32_e32 v3, vcc_lo, 0, v232, vcc_lo
	s_add_i32 s2, s4, s2
	v_add_co_u32 v0, vcc_lo, v0, s3
	v_add_co_ci_u32_e32 v1, vcc_lo, s2, v1, vcc_lo
	global_load_b128 v[20:23], v[2:3], off offset:1904
	global_load_b128 v[12:15], v[0:1], off
	s_waitcnt vmcnt(2)
	v_mul_f64 v[4:5], v[10:11], v[18:19]
	v_mul_f64 v[6:7], v[8:9], v[18:19]
	v_mov_b32_e32 v25, v17
	s_mul_i32 s4, s13, 0xffffaa10
	scratch_store_b128 off, v[24:27], off offset:184 ; 16-byte Folded Spill
	s_waitcnt vmcnt(1)
	scratch_store_b128 off, v[20:23], off offset:8 ; 16-byte Folded Spill
	s_waitcnt vmcnt(0)
	v_mul_f64 v[16:17], v[14:15], v[22:23]
	v_fma_f64 v[61:62], v[8:9], v[24:25], v[4:5]
	v_mul_f64 v[4:5], v[12:13], v[22:23]
	v_fma_f64 v[63:64], v[10:11], v[24:25], -v[6:7]
	v_add_co_u32 v6, vcc_lo, 0x2000, v231
	v_add_co_ci_u32_e32 v7, vcc_lo, 0, v232, vcc_lo
	v_add_co_u32 v0, vcc_lo, v0, s3
	v_add_co_ci_u32_e32 v1, vcc_lo, s2, v1, vcc_lo
	s_sub_i32 s4, s4, s12
	v_fma_f64 v[65:66], v[12:13], v[20:21], v[16:17]
	global_load_b128 v[16:19], v[6:7], off offset:3808
	v_fma_f64 v[67:68], v[14:15], v[20:21], -v[4:5]
	global_load_b128 v[12:15], v[0:1], off
	v_add_co_u32 v0, vcc_lo, v0, s3
	v_add_co_ci_u32_e32 v1, vcc_lo, s2, v1, vcc_lo
	s_waitcnt vmcnt(0)
	v_mul_f64 v[4:5], v[14:15], v[18:19]
	v_mul_f64 v[8:9], v[12:13], v[18:19]
	s_delay_alu instid0(VALU_DEP_2) | instskip(SKIP_2) | instid1(VALU_DEP_4)
	v_fma_f64 v[69:70], v[12:13], v[16:17], v[4:5]
	v_add_co_u32 v4, vcc_lo, 0x4000, v231
	v_add_co_ci_u32_e32 v5, vcc_lo, 0, v232, vcc_lo
	v_fma_f64 v[71:72], v[14:15], v[16:17], -v[8:9]
	global_load_b128 v[12:15], v[4:5], off offset:1616
	scratch_store_b128 off, v[16:19], off offset:24 ; 16-byte Folded Spill
	global_load_b128 v[16:19], v[0:1], off
	v_add_co_u32 v0, vcc_lo, v0, s3
	v_add_co_ci_u32_e32 v1, vcc_lo, s2, v1, vcc_lo
	global_load_b128 v[20:23], v[0:1], off
	s_waitcnt vmcnt(2)
	scratch_store_b128 off, v[12:15], off offset:40 ; 16-byte Folded Spill
	s_waitcnt vmcnt(1)
	v_mul_f64 v[8:9], v[18:19], v[14:15]
	v_mul_f64 v[10:11], v[16:17], v[14:15]
	s_delay_alu instid0(VALU_DEP_2) | instskip(SKIP_2) | instid1(VALU_DEP_4)
	v_fma_f64 v[73:74], v[16:17], v[12:13], v[8:9]
	v_add_co_u32 v8, vcc_lo, 0x5000, v231
	v_add_co_ci_u32_e32 v9, vcc_lo, 0, v232, vcc_lo
	v_fma_f64 v[75:76], v[18:19], v[12:13], -v[10:11]
	global_load_b128 v[14:17], v[8:9], off offset:3520
	s_waitcnt vmcnt(0)
	v_mul_f64 v[10:11], v[22:23], v[16:17]
	v_mul_f64 v[12:13], v[20:21], v[16:17]
	scratch_store_b128 off, v[14:17], off offset:56 ; 16-byte Folded Spill
	v_fma_f64 v[77:78], v[20:21], v[14:15], v[10:11]
	v_mad_u64_u32 v[10:11], null, 0xffffaa10, s12, v[0:1]
	v_fma_f64 v[79:80], v[22:23], v[14:15], -v[12:13]
	global_load_b128 v[14:17], v121, s[8:9] offset:2000
	v_add_nc_u32_e32 v11, s4, v11
	global_load_b128 v[24:27], v[10:11], off
	s_waitcnt vmcnt(1)
	scratch_store_b128 off, v[14:17], off offset:72 ; 16-byte Folded Spill
	s_waitcnt vmcnt(0)
	v_mul_f64 v[0:1], v[26:27], v[16:17]
	v_mul_f64 v[12:13], v[24:25], v[16:17]
	s_delay_alu instid0(VALU_DEP_2) | instskip(SKIP_2) | instid1(VALU_DEP_4)
	v_fma_f64 v[81:82], v[24:25], v[14:15], v[0:1]
	v_add_co_u32 v0, vcc_lo, v10, s3
	v_add_co_ci_u32_e32 v1, vcc_lo, s2, v11, vcc_lo
	v_fma_f64 v[83:84], v[26:27], v[14:15], -v[12:13]
	global_load_b128 v[12:15], v[2:3], off offset:3904
	global_load_b128 v[28:31], v[0:1], off
	v_add_co_u32 v0, vcc_lo, v0, s3
	v_add_co_ci_u32_e32 v1, vcc_lo, s2, v1, vcc_lo
	global_load_b128 v[32:35], v[0:1], off
	s_waitcnt vmcnt(2)
	scratch_store_b128 off, v[12:15], off offset:88 ; 16-byte Folded Spill
	s_waitcnt vmcnt(1)
	v_mul_f64 v[2:3], v[30:31], v[14:15]
	v_mul_f64 v[10:11], v[28:29], v[14:15]
	s_delay_alu instid0(VALU_DEP_2) | instskip(SKIP_2) | instid1(VALU_DEP_4)
	v_fma_f64 v[85:86], v[28:29], v[12:13], v[2:3]
	v_add_co_u32 v2, vcc_lo, 0x3000, v231
	v_add_co_ci_u32_e32 v3, vcc_lo, 0, v232, vcc_lo
	v_fma_f64 v[87:88], v[30:31], v[12:13], -v[10:11]
	v_add_co_u32 v0, vcc_lo, v0, s3
	global_load_b128 v[14:17], v[2:3], off offset:1712
	v_add_co_ci_u32_e32 v1, vcc_lo, s2, v1, vcc_lo
	global_load_b128 v[36:39], v[0:1], off
	v_add_co_u32 v0, vcc_lo, v0, s3
	v_add_co_ci_u32_e32 v1, vcc_lo, s2, v1, vcc_lo
	global_load_b128 v[40:43], v[0:1], off
	s_waitcnt vmcnt(2)
	v_mul_f64 v[10:11], v[34:35], v[16:17]
	v_mul_f64 v[12:13], v[32:33], v[16:17]
	scratch_store_b128 off, v[14:17], off offset:104 ; 16-byte Folded Spill
	v_fma_f64 v[89:90], v[32:33], v[14:15], v[10:11]
	v_fma_f64 v[91:92], v[34:35], v[14:15], -v[12:13]
	global_load_b128 v[12:15], v[4:5], off offset:3616
	s_waitcnt vmcnt(0)
	v_mul_f64 v[4:5], v[38:39], v[14:15]
	scratch_store_b128 off, v[12:15], off offset:120 ; 16-byte Folded Spill
	v_mul_f64 v[10:11], v[36:37], v[14:15]
	v_fma_f64 v[93:94], v[36:37], v[12:13], v[4:5]
	v_add_co_u32 v4, vcc_lo, 0x6000, v231
	v_add_co_ci_u32_e32 v5, vcc_lo, 0, v232, vcc_lo
	s_delay_alu instid0(VALU_DEP_4)
	v_fma_f64 v[95:96], v[38:39], v[12:13], -v[10:11]
	global_load_b128 v[14:17], v[4:5], off offset:1424
	s_waitcnt vmcnt(0)
	v_mul_f64 v[10:11], v[42:43], v[16:17]
	v_mul_f64 v[12:13], v[40:41], v[16:17]
	scratch_store_b128 off, v[14:17], off offset:136 ; 16-byte Folded Spill
	v_fma_f64 v[97:98], v[40:41], v[14:15], v[10:11]
	v_mad_u64_u32 v[10:11], null, 0xffffaa10, s12, v[0:1]
	v_fma_f64 v[99:100], v[42:43], v[14:15], -v[12:13]
	global_load_b128 v[14:17], v121, s[8:9] offset:4000
	s_mov_b32 s9, 0xbfe2cf23
	s_mov_b32 s12, 0x372fe950
	;; [unrolled: 1-line block ×3, first 2 shown]
	v_add_nc_u32_e32 v11, s4, v11
	global_load_b128 v[44:47], v[10:11], off
	s_waitcnt vmcnt(1)
	scratch_store_b128 off, v[14:17], off offset:152 ; 16-byte Folded Spill
	s_waitcnt vmcnt(0)
	v_mul_f64 v[0:1], v[46:47], v[16:17]
	v_mul_f64 v[12:13], v[44:45], v[16:17]
	s_delay_alu instid0(VALU_DEP_2) | instskip(SKIP_2) | instid1(VALU_DEP_4)
	v_fma_f64 v[101:102], v[44:45], v[14:15], v[0:1]
	v_add_co_u32 v0, vcc_lo, v10, s3
	v_add_co_ci_u32_e32 v1, vcc_lo, s2, v11, vcc_lo
	v_fma_f64 v[103:104], v[46:47], v[14:15], -v[12:13]
	global_load_b128 v[12:15], v[6:7], off offset:1808
	global_load_b128 v[48:51], v[0:1], off
	v_add_co_u32 v0, vcc_lo, v0, s3
	v_add_co_ci_u32_e32 v1, vcc_lo, s2, v1, vcc_lo
	global_load_b128 v[52:55], v[0:1], off
	v_add_co_u32 v0, vcc_lo, v0, s3
	v_add_co_ci_u32_e32 v1, vcc_lo, s2, v1, vcc_lo
	global_load_b128 v[56:59], v[0:1], off
	v_add_co_u32 v0, vcc_lo, v0, s3
	v_add_co_ci_u32_e32 v1, vcc_lo, s2, v1, vcc_lo
	s_mov_b32 s2, 0x4755a5e
	s_mov_b32 s3, 0x3fe2cf23
	;; [unrolled: 1-line block ×3, first 2 shown]
	global_load_b128 v[117:120], v[0:1], off
	s_waitcnt vmcnt(4)
	scratch_store_b128 off, v[12:15], off offset:168 ; 16-byte Folded Spill
	s_waitcnt vmcnt(3)
	v_mul_f64 v[6:7], v[50:51], v[14:15]
	v_mul_f64 v[10:11], v[48:49], v[14:15]
	s_delay_alu instid0(VALU_DEP_2) | instskip(NEXT) | instid1(VALU_DEP_2)
	v_fma_f64 v[105:106], v[48:49], v[12:13], v[6:7]
	v_fma_f64 v[107:108], v[50:51], v[12:13], -v[10:11]
	global_load_b128 v[10:13], v[2:3], off offset:3712
	s_waitcnt vmcnt(0)
	v_mul_f64 v[2:3], v[54:55], v[12:13]
	v_mul_f64 v[6:7], v[52:53], v[12:13]
	scratch_store_b128 off, v[10:13], off offset:200 ; 16-byte Folded Spill
	v_fma_f64 v[109:110], v[52:53], v[10:11], v[2:3]
	v_fma_f64 v[111:112], v[54:55], v[10:11], -v[6:7]
	global_load_b128 v[8:11], v[8:9], off offset:1520
	s_waitcnt vmcnt(0)
	v_mul_f64 v[6:7], v[56:57], v[10:11]
	v_mul_f64 v[2:3], v[58:59], v[10:11]
	s_delay_alu instid0(VALU_DEP_2)
	v_fma_f64 v[115:116], v[58:59], v[8:9], -v[6:7]
	global_load_b128 v[4:7], v[4:5], off offset:3424
	v_fma_f64 v[113:114], v[56:57], v[8:9], v[2:3]
	scratch_store_b128 off, v[8:11], off offset:216 ; 16-byte Folded Spill
	s_waitcnt vmcnt(0)
	scratch_store_b128 off, v[4:7], off offset:232 ; 16-byte Folded Spill
	v_mul_f64 v[0:1], v[119:120], v[6:7]
	v_mul_f64 v[2:3], v[117:118], v[6:7]
	s_delay_alu instid0(VALU_DEP_2) | instskip(NEXT) | instid1(VALU_DEP_2)
	v_fma_f64 v[117:118], v[117:118], v[4:5], v[0:1]
	v_fma_f64 v[119:120], v[119:120], v[4:5], -v[2:3]
	v_and_b32_e32 v0, 1, v60
	s_delay_alu instid0(VALU_DEP_1) | instskip(SKIP_1) | instid1(VALU_DEP_1)
	v_cmp_eq_u32_e32 vcc_lo, 1, v0
	v_cndmask_b32_e64 v180, 0, 0x7530, vcc_lo
	v_add_nc_u32_e32 v230, v180, v121
	ds_store_b128 v230, v[61:64]
	ds_store_b128 v230, v[65:68] offset:6000
	ds_store_b128 v230, v[69:72] offset:12000
	;; [unrolled: 1-line block ×14, first 2 shown]
	s_load_b128 s[4:7], s[6:7], 0x0
	s_waitcnt lgkmcnt(0)
	s_waitcnt_vscnt null, 0x0
	s_barrier
	buffer_gl0_inv
	ds_load_b128 v[60:63], v230
	ds_load_b128 v[64:67], v230 offset:6000
	ds_load_b128 v[68:71], v230 offset:24000
	;; [unrolled: 1-line block ×3, first 2 shown]
	s_waitcnt lgkmcnt(2)
	v_add_f64 v[0:1], v[60:61], v[64:65]
	v_add_f64 v[2:3], v[62:63], v[66:67]
	s_waitcnt lgkmcnt(1)
	v_add_f64 v[4:5], v[64:65], v[68:69]
	v_add_f64 v[6:7], v[66:67], -v[70:71]
	v_add_f64 v[8:9], v[66:67], v[70:71]
	s_waitcnt lgkmcnt(0)
	v_add_f64 v[10:11], v[64:65], -v[72:73]
	v_add_f64 v[12:13], v[72:73], -v[64:65]
	;; [unrolled: 1-line block ×5, first 2 shown]
	ds_load_b128 v[64:67], v230 offset:18000
	s_waitcnt lgkmcnt(0)
	v_add_f64 v[20:21], v[72:73], v[64:65]
	v_add_f64 v[22:23], v[74:75], v[66:67]
	v_add_f64 v[24:25], v[74:75], -v[66:67]
	v_add_f64 v[26:27], v[72:73], -v[64:65]
	;; [unrolled: 1-line block ×6, first 2 shown]
	v_add_f64 v[0:1], v[0:1], v[72:73]
	v_add_f64 v[2:3], v[2:3], v[74:75]
	v_fma_f64 v[8:9], v[8:9], -0.5, v[62:63]
	v_add_f64 v[10:11], v[10:11], v[28:29]
	v_add_f64 v[16:17], v[16:17], v[32:33]
	;; [unrolled: 1-line block ×4, first 2 shown]
	s_delay_alu instid0(VALU_DEP_2) | instskip(NEXT) | instid1(VALU_DEP_2)
	v_add_f64 v[64:65], v[0:1], v[68:69]
	v_add_f64 v[66:67], v[2:3], v[70:71]
	ds_load_b128 v[68:71], v230 offset:8000
	ds_load_b128 v[72:75], v230 offset:2000
	;; [unrolled: 1-line block ×4, first 2 shown]
	s_waitcnt lgkmcnt(2)
	v_add_f64 v[0:1], v[72:73], v[68:69]
	v_add_f64 v[2:3], v[74:75], v[70:71]
	s_waitcnt lgkmcnt(1)
	v_add_f64 v[36:37], v[68:69], v[76:77]
	v_add_f64 v[38:39], v[70:71], v[78:79]
	v_add_f64 v[40:41], v[70:71], -v[78:79]
	s_waitcnt lgkmcnt(0)
	v_add_f64 v[42:43], v[68:69], -v[80:81]
	v_add_f64 v[44:45], v[80:81], -v[68:69]
	;; [unrolled: 1-line block ×5, first 2 shown]
	ds_load_b128 v[68:71], v230 offset:20000
	s_waitcnt lgkmcnt(0)
	v_add_f64 v[52:53], v[80:81], v[68:69]
	v_add_f64 v[54:55], v[82:83], v[70:71]
	v_add_f64 v[56:57], v[82:83], -v[70:71]
	v_add_f64 v[58:59], v[80:81], -v[68:69]
	;; [unrolled: 1-line block ×6, first 2 shown]
	v_add_f64 v[0:1], v[0:1], v[80:81]
	v_add_f64 v[2:3], v[2:3], v[82:83]
	v_fma_f64 v[38:39], v[38:39], -0.5, v[74:75]
	s_delay_alu instid0(VALU_DEP_3) | instskip(NEXT) | instid1(VALU_DEP_3)
	v_add_f64 v[0:1], v[0:1], v[68:69]
	v_add_f64 v[2:3], v[2:3], v[70:71]
	s_delay_alu instid0(VALU_DEP_2) | instskip(NEXT) | instid1(VALU_DEP_2)
	v_add_f64 v[68:69], v[0:1], v[76:77]
	v_add_f64 v[70:71], v[2:3], v[78:79]
	ds_load_b128 v[76:79], v230 offset:10000
	ds_load_b128 v[80:83], v230 offset:4000
	;; [unrolled: 1-line block ×4, first 2 shown]
	s_waitcnt lgkmcnt(2)
	v_add_f64 v[2:3], v[82:83], v[78:79]
	v_add_f64 v[0:1], v[80:81], v[76:77]
	s_waitcnt lgkmcnt(1)
	v_add_f64 v[100:101], v[76:77], v[84:85]
	v_add_f64 v[102:103], v[78:79], v[86:87]
	v_add_f64 v[112:113], v[78:79], -v[86:87]
	s_waitcnt lgkmcnt(0)
	v_add_f64 v[114:115], v[76:77], -v[88:89]
	v_add_f64 v[116:117], v[76:77], -v[84:85]
	;; [unrolled: 1-line block ×5, first 2 shown]
	ds_load_b128 v[76:79], v230 offset:22000
	s_waitcnt lgkmcnt(0)
	v_add_f64 v[110:111], v[90:91], v[78:79]
	v_add_f64 v[120:121], v[90:91], -v[78:79]
	v_add_f64 v[128:129], v[86:87], -v[78:79]
	;; [unrolled: 1-line block ×3, first 2 shown]
	v_add_f64 v[108:109], v[88:89], v[76:77]
	v_add_f64 v[122:123], v[88:89], -v[76:77]
	v_add_f64 v[124:125], v[84:85], -v[76:77]
	;; [unrolled: 1-line block ×3, first 2 shown]
	v_add_f64 v[2:3], v[2:3], v[90:91]
	v_add_f64 v[0:1], v[0:1], v[88:89]
	v_fma_f64 v[132:133], v[110:111], -0.5, v[82:83]
	s_delay_alu instid0(VALU_DEP_3) | instskip(NEXT) | instid1(VALU_DEP_3)
	v_add_f64 v[2:3], v[2:3], v[78:79]
	v_add_f64 v[0:1], v[0:1], v[76:77]
	s_delay_alu instid0(VALU_DEP_2) | instskip(SKIP_2) | instid1(VALU_DEP_4)
	v_add_f64 v[78:79], v[2:3], v[86:87]
	v_fma_f64 v[2:3], v[4:5], -0.5, v[60:61]
	v_fma_f64 v[4:5], v[22:23], -0.5, v[62:63]
	v_add_f64 v[76:77], v[0:1], v[84:85]
	v_fma_f64 v[0:1], v[20:21], -0.5, v[60:61]
	v_fma_f64 v[22:23], v[36:37], -0.5, v[72:73]
	;; [unrolled: 1-line block ×7, first 2 shown]
	v_fma_f64 v[32:33], v[14:15], s[16:17], v[4:5]
	v_fma_f64 v[4:5], v[14:15], s[14:15], v[4:5]
	;; [unrolled: 1-line block ×4, first 2 shown]
	s_delay_alu instid0(VALU_DEP_4) | instskip(NEXT) | instid1(VALU_DEP_4)
	v_fma_f64 v[32:33], v[26:27], s[8:9], v[32:33]
	v_fma_f64 v[4:5], v[26:27], s[2:3], v[4:5]
	s_delay_alu instid0(VALU_DEP_4) | instskip(NEXT) | instid1(VALU_DEP_4)
	v_fma_f64 v[28:29], v[24:25], s[2:3], v[28:29]
	v_fma_f64 v[0:1], v[24:25], s[8:9], v[0:1]
	;; [unrolled: 3-line block ×3, first 2 shown]
	v_fma_f64 v[4:5], v[26:27], s[14:15], v[8:9]
	s_delay_alu instid0(VALU_DEP_4)
	v_fma_f64 v[72:73], v[10:11], s[12:13], v[0:1]
	v_fma_f64 v[0:1], v[24:25], s[16:17], v[2:3]
	;; [unrolled: 1-line block ×5, first 2 shown]
	v_add_f64 v[10:11], v[12:13], v[30:31]
	v_add_f64 v[12:13], v[18:19], v[34:35]
	v_mul_u32_u24_e32 v32, 0x47af, v172
	s_delay_alu instid0(VALU_DEP_1) | instskip(NEXT) | instid1(VALU_DEP_1)
	v_lshrrev_b32_e32 v32, 16, v32
	v_sub_nc_u16 v33, v181, v32
	s_delay_alu instid0(VALU_DEP_1) | instskip(NEXT) | instid1(VALU_DEP_1)
	v_lshrrev_b16 v33, 1, v33
	v_add_nc_u16 v32, v33, v32
	v_fma_f64 v[4:5], v[14:15], s[8:9], v[4:5]
	v_fma_f64 v[0:1], v[6:7], s[2:3], v[0:1]
	;; [unrolled: 1-line block ×4, first 2 shown]
	v_add_f64 v[8:9], v[44:45], v[96:97]
	v_fma_f64 v[82:83], v[12:13], s[12:13], v[4:5]
	v_fma_f64 v[4:5], v[40:41], s[14:15], v[20:21]
	;; [unrolled: 1-line block ×3, first 2 shown]
	v_add_f64 v[0:1], v[42:43], v[92:93]
	v_fma_f64 v[86:87], v[12:13], s[12:13], v[6:7]
	v_fma_f64 v[6:7], v[46:47], s[16:17], v[36:37]
	;; [unrolled: 1-line block ×3, first 2 shown]
	v_add_f64 v[2:3], v[48:49], v[94:95]
	v_add_f64 v[10:11], v[50:51], v[98:99]
	v_fma_f64 v[4:5], v[56:57], s[2:3], v[4:5]
	v_fma_f64 v[6:7], v[58:59], s[8:9], v[6:7]
	s_delay_alu instid0(VALU_DEP_2) | instskip(SKIP_1) | instid1(VALU_DEP_3)
	v_fma_f64 v[88:89], v[0:1], s[12:13], v[4:5]
	v_fma_f64 v[4:5], v[40:41], s[16:17], v[20:21]
	v_fma_f64 v[90:91], v[2:3], s[12:13], v[6:7]
	v_fma_f64 v[6:7], v[46:47], s[14:15], v[36:37]
	s_delay_alu instid0(VALU_DEP_3) | instskip(NEXT) | instid1(VALU_DEP_2)
	v_fma_f64 v[4:5], v[56:57], s[8:9], v[4:5]
	v_fma_f64 v[6:7], v[58:59], s[2:3], v[6:7]
	s_delay_alu instid0(VALU_DEP_2) | instskip(SKIP_2) | instid1(VALU_DEP_4)
	v_fma_f64 v[92:93], v[0:1], s[12:13], v[4:5]
	v_fma_f64 v[4:5], v[58:59], s[14:15], v[38:39]
	;; [unrolled: 1-line block ×6, first 2 shown]
	v_mov_b32_e32 v58, v134
	v_fma_f64 v[4:5], v[46:47], s[8:9], v[4:5]
	v_fma_f64 v[0:1], v[40:41], s[2:3], v[0:1]
	;; [unrolled: 1-line block ×4, first 2 shown]
	s_delay_alu instid0(VALU_DEP_4)
	v_fma_f64 v[98:99], v[10:11], s[12:13], v[4:5]
	v_fma_f64 v[4:5], v[120:121], s[16:17], v[54:55]
	;; [unrolled: 1-line block ×3, first 2 shown]
	v_add_f64 v[0:1], v[104:105], v[126:127]
	v_fma_f64 v[102:103], v[10:11], s[12:13], v[6:7]
	v_fma_f64 v[6:7], v[122:123], s[14:15], v[108:109]
	;; [unrolled: 1-line block ×3, first 2 shown]
	v_add_f64 v[2:3], v[106:107], v[130:131]
	v_add_f64 v[8:9], v[114:115], v[124:125]
	;; [unrolled: 1-line block ×3, first 2 shown]
	v_fma_f64 v[4:5], v[112:113], s[2:3], v[4:5]
	v_fma_f64 v[6:7], v[116:117], s[8:9], v[6:7]
	s_delay_alu instid0(VALU_DEP_2) | instskip(SKIP_1) | instid1(VALU_DEP_3)
	v_fma_f64 v[104:105], v[0:1], s[12:13], v[4:5]
	v_fma_f64 v[4:5], v[120:121], s[14:15], v[54:55]
	;; [unrolled: 1-line block ×4, first 2 shown]
	s_delay_alu instid0(VALU_DEP_3) | instskip(NEXT) | instid1(VALU_DEP_2)
	v_fma_f64 v[4:5], v[112:113], s[8:9], v[4:5]
	v_fma_f64 v[6:7], v[116:117], s[2:3], v[6:7]
	s_delay_alu instid0(VALU_DEP_2) | instskip(SKIP_2) | instid1(VALU_DEP_4)
	v_fma_f64 v[108:109], v[0:1], s[12:13], v[4:5]
	v_fma_f64 v[0:1], v[112:113], s[14:15], v[52:53]
	;; [unrolled: 1-line block ×8, first 2 shown]
	s_delay_alu instid0(VALU_DEP_4) | instskip(NEXT) | instid1(VALU_DEP_4)
	v_fma_f64 v[2:3], v[120:121], s[8:9], v[2:3]
	v_fma_f64 v[6:7], v[122:123], s[2:3], v[6:7]
	s_delay_alu instid0(VALU_DEP_4) | instskip(NEXT) | instid1(VALU_DEP_4)
	v_fma_f64 v[112:113], v[8:9], s[12:13], v[0:1]
	v_fma_f64 v[114:115], v[10:11], s[12:13], v[4:5]
	v_mul_lo_u16 v0, v156, 5
	v_fma_f64 v[116:117], v[8:9], s[12:13], v[2:3]
	v_fma_f64 v[118:119], v[10:11], s[12:13], v[6:7]
	s_delay_alu instid0(VALU_DEP_3) | instskip(NEXT) | instid1(VALU_DEP_1)
	v_and_b32_e32 v0, 0xffff, v0
	v_lshl_add_u32 v0, v0, 4, v180
	scratch_store_b32 off, v0, off offset:452 ; 4-byte Folded Spill
	s_waitcnt_vscnt null, 0x0
	s_barrier
	buffer_gl0_inv
	ds_store_b128 v0, v[64:67]
	ds_store_b128 v0, v[60:63] offset:16
	ds_store_b128 v0, v[80:83] offset:32
	;; [unrolled: 1-line block ×4, first 2 shown]
	v_mul_u32_u24_e32 v0, 5, v182
	s_delay_alu instid0(VALU_DEP_1)
	v_lshl_add_u32 v0, v0, 4, v180
	scratch_store_b32 off, v0, off offset:448 ; 4-byte Folded Spill
	ds_store_b128 v0, v[68:71]
	ds_store_b128 v0, v[88:91] offset:16
	ds_store_b128 v0, v[96:99] offset:32
	;; [unrolled: 1-line block ×4, first 2 shown]
	v_mul_u32_u24_e32 v0, 5, v181
	s_delay_alu instid0(VALU_DEP_1)
	v_lshl_add_u32 v0, v0, 4, v180
	scratch_store_b32 off, v0, off offset:444 ; 4-byte Folded Spill
	ds_store_b128 v0, v[76:79]
	ds_store_b128 v0, v[112:115] offset:16
	ds_store_b128 v0, v[104:107] offset:32
	;; [unrolled: 1-line block ×4, first 2 shown]
	v_mul_lo_u16 v0, 0xcd, v157
	s_waitcnt lgkmcnt(0)
	s_waitcnt_vscnt null, 0x0
	s_barrier
	buffer_gl0_inv
	ds_load_b128 v[64:67], v230 offset:6000
	ds_load_b128 v[80:83], v230 offset:8000
	v_lshrrev_b16 v162, 10, v0
	ds_load_b128 v[88:91], v230 offset:20000
	ds_load_b128 v[76:79], v230 offset:24000
	;; [unrolled: 1-line block ×4, first 2 shown]
	v_mul_lo_u16 v0, v162, 5
	s_delay_alu instid0(VALU_DEP_1) | instskip(NEXT) | instid1(VALU_DEP_1)
	v_sub_nc_u16 v0, v156, v0
	v_and_b32_e32 v159, 0xff, v0
	s_delay_alu instid0(VALU_DEP_1)
	v_lshlrev_b32_e32 v2, 6, v159
	global_load_b128 v[3:6], v2, s[10:11]
	s_waitcnt vmcnt(0) lgkmcnt(5)
	v_mul_f64 v[0:1], v[66:67], v[5:6]
	scratch_store_b128 off, v[3:6], off offset:300 ; 16-byte Folded Spill
	v_fma_f64 v[142:143], v[64:65], v[3:4], -v[0:1]
	v_mul_f64 v[0:1], v[64:65], v[5:6]
	s_delay_alu instid0(VALU_DEP_1)
	v_fma_f64 v[140:141], v[66:67], v[3:4], v[0:1]
	global_load_b128 v[3:6], v2, s[10:11] offset:16
	ds_load_b128 v[64:67], v230 offset:12000
	s_waitcnt vmcnt(0) lgkmcnt(0)
	v_mul_f64 v[0:1], v[66:67], v[5:6]
	scratch_store_b128 off, v[3:6], off offset:284 ; 16-byte Folded Spill
	v_fma_f64 v[144:145], v[64:65], v[3:4], -v[0:1]
	v_mul_f64 v[0:1], v[64:65], v[5:6]
	s_delay_alu instid0(VALU_DEP_1)
	v_fma_f64 v[146:147], v[66:67], v[3:4], v[0:1]
	global_load_b128 v[3:6], v2, s[10:11] offset:32
	ds_load_b128 v[64:67], v230 offset:18000
	s_waitcnt vmcnt(0) lgkmcnt(0)
	v_mul_f64 v[0:1], v[66:67], v[5:6]
	scratch_store_b128 off, v[3:6], off offset:268 ; 16-byte Folded Spill
	v_fma_f64 v[150:151], v[64:65], v[3:4], -v[0:1]
	v_mul_f64 v[0:1], v[64:65], v[5:6]
	s_delay_alu instid0(VALU_DEP_2) | instskip(NEXT) | instid1(VALU_DEP_2)
	v_add_f64 v[16:17], v[144:145], -v[150:151]
	v_fma_f64 v[148:149], v[66:67], v[3:4], v[0:1]
	global_load_b128 v[2:5], v2, s[10:11] offset:48
	v_add_f64 v[10:11], v[146:147], -v[148:149]
	s_waitcnt vmcnt(0)
	v_mul_f64 v[0:1], v[78:79], v[4:5]
	scratch_store_b128 off, v[2:5], off offset:252 ; 16-byte Folded Spill
	v_fma_f64 v[152:153], v[76:77], v[2:3], -v[0:1]
	v_mul_f64 v[0:1], v[76:77], v[4:5]
	s_delay_alu instid0(VALU_DEP_2) | instskip(NEXT) | instid1(VALU_DEP_2)
	v_add_f64 v[14:15], v[142:143], -v[152:153]
	v_fma_f64 v[154:155], v[78:79], v[2:3], v[0:1]
	v_mul_lo_u16 v0, 0xcd, v158
	v_add_f64 v[20:21], v[150:151], -v[152:153]
	s_delay_alu instid0(VALU_DEP_2) | instskip(NEXT) | instid1(VALU_DEP_1)
	v_lshrrev_b16 v160, 10, v0
	v_mul_lo_u16 v0, v160, 5
	s_delay_alu instid0(VALU_DEP_1) | instskip(NEXT) | instid1(VALU_DEP_1)
	v_sub_nc_u16 v0, v182, v0
	v_and_b32_e32 v161, 0xff, v0
	s_delay_alu instid0(VALU_DEP_1)
	v_lshlrev_b32_e32 v2, 6, v161
	global_load_b128 v[3:6], v2, s[10:11]
	v_add_f64 v[8:9], v[140:141], -v[154:155]
	s_waitcnt vmcnt(0)
	v_mul_f64 v[0:1], v[82:83], v[5:6]
	scratch_store_b128 off, v[3:6], off offset:316 ; 16-byte Folded Spill
	v_fma_f64 v[126:127], v[80:81], v[3:4], -v[0:1]
	v_mul_f64 v[0:1], v[80:81], v[5:6]
	s_delay_alu instid0(VALU_DEP_1)
	v_fma_f64 v[124:125], v[82:83], v[3:4], v[0:1]
	global_load_b128 v[3:6], v2, s[10:11] offset:16
	ds_load_b128 v[80:83], v230 offset:14000
	s_waitcnt vmcnt(0) lgkmcnt(0)
	v_mul_f64 v[0:1], v[82:83], v[5:6]
	scratch_store_b128 off, v[3:6], off offset:348 ; 16-byte Folded Spill
	v_fma_f64 v[128:129], v[80:81], v[3:4], -v[0:1]
	v_mul_f64 v[0:1], v[80:81], v[5:6]
	s_delay_alu instid0(VALU_DEP_1)
	v_fma_f64 v[130:131], v[82:83], v[3:4], v[0:1]
	global_load_b128 v[3:6], v2, s[10:11] offset:32
	s_waitcnt vmcnt(0)
	v_mul_f64 v[0:1], v[90:91], v[5:6]
	scratch_store_b128 off, v[3:6], off offset:332 ; 16-byte Folded Spill
	v_fma_f64 v[134:135], v[88:89], v[3:4], -v[0:1]
	v_mul_f64 v[0:1], v[88:89], v[5:6]
	s_delay_alu instid0(VALU_DEP_1)
	v_fma_f64 v[132:133], v[90:91], v[3:4], v[0:1]
	global_load_b128 v[2:5], v2, s[10:11] offset:48
	s_waitcnt vmcnt(0)
	v_mul_f64 v[0:1], v[94:95], v[4:5]
	scratch_store_b128 off, v[2:5], off offset:364 ; 16-byte Folded Spill
	v_fma_f64 v[136:137], v[92:93], v[2:3], -v[0:1]
	v_mul_f64 v[0:1], v[92:93], v[4:5]
	s_delay_alu instid0(VALU_DEP_1) | instskip(SKIP_3) | instid1(VALU_DEP_1)
	v_fma_f64 v[138:139], v[94:95], v[2:3], v[0:1]
	v_mul_u32_u24_e32 v0, 0xcccd, v172
	ds_load_b128 v[92:95], v230 offset:10000
	v_lshrrev_b32_e32 v163, 18, v0
	v_mul_lo_u16 v0, v163, 5
	s_delay_alu instid0(VALU_DEP_1) | instskip(NEXT) | instid1(VALU_DEP_1)
	v_sub_nc_u16 v164, v181, v0
	v_lshlrev_b16 v0, 2, v164
	s_delay_alu instid0(VALU_DEP_1) | instskip(NEXT) | instid1(VALU_DEP_1)
	v_and_b32_e32 v0, 0xffff, v0
	v_lshlrev_b32_e32 v2, 4, v0
	global_load_b128 v[3:6], v2, s[10:11]
	s_waitcnt vmcnt(0) lgkmcnt(0)
	v_mul_f64 v[0:1], v[94:95], v[5:6]
	scratch_store_b128 off, v[3:6], off offset:380 ; 16-byte Folded Spill
	v_fma_f64 v[110:111], v[92:93], v[3:4], -v[0:1]
	v_mul_f64 v[0:1], v[92:93], v[5:6]
	s_delay_alu instid0(VALU_DEP_1)
	v_fma_f64 v[108:109], v[94:95], v[3:4], v[0:1]
	global_load_b128 v[3:6], v2, s[10:11] offset:16
	ds_load_b128 v[92:95], v230 offset:16000
	s_waitcnt vmcnt(0) lgkmcnt(0)
	v_mul_f64 v[0:1], v[94:95], v[5:6]
	scratch_store_b128 off, v[3:6], off offset:396 ; 16-byte Folded Spill
	v_fma_f64 v[112:113], v[92:93], v[3:4], -v[0:1]
	v_mul_f64 v[0:1], v[92:93], v[5:6]
	s_delay_alu instid0(VALU_DEP_1)
	v_fma_f64 v[114:115], v[94:95], v[3:4], v[0:1]
	global_load_b128 v[3:6], v2, s[10:11] offset:32
	ds_load_b128 v[92:95], v230 offset:22000
	s_waitcnt vmcnt(0) lgkmcnt(0)
	v_mul_f64 v[0:1], v[94:95], v[5:6]
	scratch_store_b128 off, v[3:6], off offset:428 ; 16-byte Folded Spill
	v_fma_f64 v[116:117], v[92:93], v[3:4], -v[0:1]
	v_mul_f64 v[0:1], v[92:93], v[5:6]
	v_add_f64 v[6:7], v[146:147], v[148:149]
	s_delay_alu instid0(VALU_DEP_2)
	v_fma_f64 v[118:119], v[94:95], v[3:4], v[0:1]
	global_load_b128 v[2:5], v2, s[10:11] offset:48
	s_waitcnt vmcnt(0)
	v_mul_f64 v[0:1], v[167:168], v[4:5]
	scratch_store_b128 off, v[2:5], off offset:412 ; 16-byte Folded Spill
	v_fma_f64 v[120:121], v[165:166], v[2:3], -v[0:1]
	v_mul_f64 v[0:1], v[165:166], v[4:5]
	v_add_f64 v[4:5], v[154:155], -v[148:149]
	s_delay_alu instid0(VALU_DEP_2)
	v_fma_f64 v[122:123], v[167:168], v[2:3], v[0:1]
	v_add_f64 v[0:1], v[142:143], -v[144:145]
	v_add_f64 v[2:3], v[152:153], -v[150:151]
	ds_load_b128 v[165:168], v230
	s_waitcnt lgkmcnt(0)
	v_fma_f64 v[6:7], v[6:7], -0.5, v[167:168]
	v_add_f64 v[0:1], v[0:1], v[2:3]
	v_add_f64 v[2:3], v[140:141], -v[146:147]
	s_delay_alu instid0(VALU_DEP_3) | instskip(SKIP_1) | instid1(VALU_DEP_3)
	v_fma_f64 v[18:19], v[14:15], s[16:17], v[6:7]
	v_fma_f64 v[6:7], v[14:15], s[14:15], v[6:7]
	v_add_f64 v[2:3], v[2:3], v[4:5]
	v_add_f64 v[4:5], v[144:145], v[150:151]
	s_delay_alu instid0(VALU_DEP_4) | instskip(NEXT) | instid1(VALU_DEP_4)
	v_fma_f64 v[18:19], v[16:17], s[8:9], v[18:19]
	v_fma_f64 v[6:7], v[16:17], s[2:3], v[6:7]
	s_delay_alu instid0(VALU_DEP_3) | instskip(NEXT) | instid1(VALU_DEP_3)
	v_fma_f64 v[4:5], v[4:5], -0.5, v[165:166]
	v_fma_f64 v[175:176], v[2:3], s[12:13], v[18:19]
	s_delay_alu instid0(VALU_DEP_3)
	v_fma_f64 v[185:186], v[2:3], s[12:13], v[6:7]
	v_add_f64 v[6:7], v[167:168], v[140:141]
	v_add_f64 v[2:3], v[140:141], v[154:155]
	v_add_f64 v[18:19], v[146:147], -v[140:141]
	v_fma_f64 v[12:13], v[8:9], s[14:15], v[4:5]
	v_fma_f64 v[4:5], v[8:9], s[16:17], v[4:5]
	v_add_f64 v[6:7], v[6:7], v[146:147]
	v_fma_f64 v[2:3], v[2:3], -0.5, v[167:168]
	s_delay_alu instid0(VALU_DEP_4) | instskip(NEXT) | instid1(VALU_DEP_4)
	v_fma_f64 v[12:13], v[10:11], s[2:3], v[12:13]
	v_fma_f64 v[4:5], v[10:11], s[8:9], v[4:5]
	s_delay_alu instid0(VALU_DEP_4) | instskip(NEXT) | instid1(VALU_DEP_3)
	v_add_f64 v[6:7], v[6:7], v[148:149]
	v_fma_f64 v[173:174], v[0:1], s[12:13], v[12:13]
	s_delay_alu instid0(VALU_DEP_3) | instskip(SKIP_4) | instid1(VALU_DEP_4)
	v_fma_f64 v[183:184], v[0:1], s[12:13], v[4:5]
	v_add_f64 v[4:5], v[165:166], v[142:143]
	v_add_f64 v[0:1], v[142:143], v[152:153]
	v_add_f64 v[12:13], v[144:145], -v[142:143]
	v_add_f64 v[142:143], v[6:7], v[154:155]
	v_add_f64 v[4:5], v[4:5], v[144:145]
	s_delay_alu instid0(VALU_DEP_4) | instskip(NEXT) | instid1(VALU_DEP_4)
	v_fma_f64 v[0:1], v[0:1], -0.5, v[165:166]
	v_add_f64 v[12:13], v[12:13], v[20:21]
	v_add_f64 v[20:21], v[134:135], -v[136:137]
	s_delay_alu instid0(VALU_DEP_4) | instskip(NEXT) | instid1(VALU_DEP_4)
	v_add_f64 v[4:5], v[4:5], v[150:151]
	v_fma_f64 v[6:7], v[10:11], s[16:17], v[0:1]
	v_fma_f64 v[0:1], v[10:11], s[14:15], v[0:1]
	;; [unrolled: 1-line block ×4, first 2 shown]
	v_add_f64 v[16:17], v[128:129], -v[134:135]
	v_add_f64 v[140:141], v[4:5], v[152:153]
	v_add_f64 v[4:5], v[148:149], -v[154:155]
	v_fma_f64 v[0:1], v[8:9], s[8:9], v[0:1]
	v_fma_f64 v[6:7], v[8:9], s[2:3], v[6:7]
	;; [unrolled: 1-line block ×4, first 2 shown]
	ds_load_b128 v[152:155], v230 offset:2000
	v_add_f64 v[14:15], v[126:127], -v[136:137]
	v_add_f64 v[10:11], v[130:131], -v[132:133]
	v_add_f64 v[4:5], v[18:19], v[4:5]
	v_fma_f64 v[148:149], v[12:13], s[12:13], v[0:1]
	v_add_f64 v[0:1], v[126:127], -v[128:129]
	v_fma_f64 v[144:145], v[12:13], s[12:13], v[6:7]
	v_add_f64 v[6:7], v[130:131], v[132:133]
	v_fma_f64 v[150:151], v[4:5], s[12:13], v[2:3]
	v_add_f64 v[2:3], v[136:137], -v[134:135]
	v_fma_f64 v[146:147], v[4:5], s[12:13], v[8:9]
	v_add_f64 v[4:5], v[138:139], -v[132:133]
	s_waitcnt lgkmcnt(0)
	v_fma_f64 v[6:7], v[6:7], -0.5, v[154:155]
	v_add_f64 v[8:9], v[124:125], -v[138:139]
	v_add_f64 v[0:1], v[0:1], v[2:3]
	v_add_f64 v[2:3], v[124:125], -v[130:131]
	s_delay_alu instid0(VALU_DEP_4) | instskip(SKIP_1) | instid1(VALU_DEP_3)
	v_fma_f64 v[18:19], v[14:15], s[16:17], v[6:7]
	v_fma_f64 v[6:7], v[14:15], s[14:15], v[6:7]
	v_add_f64 v[2:3], v[2:3], v[4:5]
	v_add_f64 v[4:5], v[128:129], v[134:135]
	s_delay_alu instid0(VALU_DEP_4) | instskip(NEXT) | instid1(VALU_DEP_4)
	v_fma_f64 v[18:19], v[16:17], s[8:9], v[18:19]
	v_fma_f64 v[6:7], v[16:17], s[2:3], v[6:7]
	s_delay_alu instid0(VALU_DEP_3) | instskip(NEXT) | instid1(VALU_DEP_3)
	v_fma_f64 v[4:5], v[4:5], -0.5, v[152:153]
	v_fma_f64 v[167:168], v[2:3], s[12:13], v[18:19]
	s_delay_alu instid0(VALU_DEP_3)
	v_fma_f64 v[189:190], v[2:3], s[12:13], v[6:7]
	v_add_f64 v[6:7], v[154:155], v[124:125]
	v_add_f64 v[2:3], v[124:125], v[138:139]
	v_add_f64 v[18:19], v[130:131], -v[124:125]
	v_fma_f64 v[12:13], v[8:9], s[14:15], v[4:5]
	v_fma_f64 v[4:5], v[8:9], s[16:17], v[4:5]
	v_add_f64 v[6:7], v[6:7], v[130:131]
	v_fma_f64 v[2:3], v[2:3], -0.5, v[154:155]
	s_delay_alu instid0(VALU_DEP_4) | instskip(NEXT) | instid1(VALU_DEP_4)
	v_fma_f64 v[12:13], v[10:11], s[2:3], v[12:13]
	v_fma_f64 v[4:5], v[10:11], s[8:9], v[4:5]
	s_delay_alu instid0(VALU_DEP_4) | instskip(NEXT) | instid1(VALU_DEP_3)
	v_add_f64 v[6:7], v[6:7], v[132:133]
	v_fma_f64 v[165:166], v[0:1], s[12:13], v[12:13]
	s_delay_alu instid0(VALU_DEP_3) | instskip(SKIP_4) | instid1(VALU_DEP_4)
	v_fma_f64 v[187:188], v[0:1], s[12:13], v[4:5]
	v_add_f64 v[4:5], v[152:153], v[126:127]
	v_add_f64 v[0:1], v[126:127], v[136:137]
	v_add_f64 v[12:13], v[128:129], -v[126:127]
	v_add_f64 v[126:127], v[6:7], v[138:139]
	v_add_f64 v[4:5], v[4:5], v[128:129]
	s_delay_alu instid0(VALU_DEP_4) | instskip(NEXT) | instid1(VALU_DEP_4)
	v_fma_f64 v[0:1], v[0:1], -0.5, v[152:153]
	v_add_f64 v[12:13], v[12:13], v[20:21]
	v_add_f64 v[20:21], v[120:121], -v[116:117]
	s_delay_alu instid0(VALU_DEP_4) | instskip(NEXT) | instid1(VALU_DEP_4)
	v_add_f64 v[4:5], v[4:5], v[134:135]
	v_fma_f64 v[6:7], v[10:11], s[16:17], v[0:1]
	v_fma_f64 v[0:1], v[10:11], s[14:15], v[0:1]
	;; [unrolled: 1-line block ×4, first 2 shown]
	v_add_f64 v[16:17], v[110:111], -v[120:121]
	v_add_f64 v[124:125], v[4:5], v[136:137]
	v_add_f64 v[4:5], v[132:133], -v[138:139]
	v_fma_f64 v[0:1], v[8:9], s[8:9], v[0:1]
	v_fma_f64 v[6:7], v[8:9], s[2:3], v[6:7]
	;; [unrolled: 1-line block ×4, first 2 shown]
	ds_load_b128 v[136:139], v230 offset:4000
	v_add_f64 v[14:15], v[112:113], -v[116:117]
	v_add_f64 v[10:11], v[108:109], -v[122:123]
	s_waitcnt lgkmcnt(0)
	s_waitcnt_vscnt null, 0x0
	s_barrier
	buffer_gl0_inv
	v_add_f64 v[4:5], v[18:19], v[4:5]
	v_fma_f64 v[132:133], v[12:13], s[12:13], v[0:1]
	v_add_f64 v[0:1], v[112:113], -v[110:111]
	v_fma_f64 v[128:129], v[12:13], s[12:13], v[6:7]
	v_add_f64 v[6:7], v[108:109], v[122:123]
	v_fma_f64 v[134:135], v[4:5], s[12:13], v[2:3]
	v_add_f64 v[2:3], v[116:117], -v[120:121]
	v_fma_f64 v[130:131], v[4:5], s[12:13], v[8:9]
	v_add_f64 v[4:5], v[118:119], -v[122:123]
	v_fma_f64 v[6:7], v[6:7], -0.5, v[138:139]
	v_add_f64 v[8:9], v[114:115], -v[118:119]
	v_add_f64 v[0:1], v[0:1], v[2:3]
	v_add_f64 v[2:3], v[114:115], -v[108:109]
	s_delay_alu instid0(VALU_DEP_4) | instskip(SKIP_1) | instid1(VALU_DEP_3)
	v_fma_f64 v[18:19], v[14:15], s[14:15], v[6:7]
	v_fma_f64 v[6:7], v[14:15], s[16:17], v[6:7]
	v_add_f64 v[2:3], v[2:3], v[4:5]
	v_add_f64 v[4:5], v[110:111], v[120:121]
	s_delay_alu instid0(VALU_DEP_4) | instskip(NEXT) | instid1(VALU_DEP_4)
	v_fma_f64 v[18:19], v[16:17], s[8:9], v[18:19]
	v_fma_f64 v[6:7], v[16:17], s[2:3], v[6:7]
	s_delay_alu instid0(VALU_DEP_3) | instskip(NEXT) | instid1(VALU_DEP_3)
	v_fma_f64 v[4:5], v[4:5], -0.5, v[136:137]
	v_fma_f64 v[154:155], v[2:3], s[12:13], v[18:19]
	s_delay_alu instid0(VALU_DEP_3)
	v_fma_f64 v[193:194], v[2:3], s[12:13], v[6:7]
	v_add_f64 v[6:7], v[138:139], v[108:109]
	v_add_f64 v[2:3], v[114:115], v[118:119]
	v_add_f64 v[18:19], v[108:109], -v[114:115]
	v_fma_f64 v[12:13], v[8:9], s[16:17], v[4:5]
	v_fma_f64 v[4:5], v[8:9], s[14:15], v[4:5]
	v_add_f64 v[6:7], v[6:7], v[114:115]
	v_fma_f64 v[2:3], v[2:3], -0.5, v[138:139]
	s_delay_alu instid0(VALU_DEP_4) | instskip(NEXT) | instid1(VALU_DEP_4)
	v_fma_f64 v[12:13], v[10:11], s[2:3], v[12:13]
	v_fma_f64 v[4:5], v[10:11], s[8:9], v[4:5]
	s_delay_alu instid0(VALU_DEP_4) | instskip(NEXT) | instid1(VALU_DEP_3)
	v_add_f64 v[6:7], v[6:7], v[118:119]
	v_fma_f64 v[152:153], v[0:1], s[12:13], v[12:13]
	s_delay_alu instid0(VALU_DEP_3) | instskip(SKIP_4) | instid1(VALU_DEP_4)
	v_fma_f64 v[191:192], v[0:1], s[12:13], v[4:5]
	v_add_f64 v[4:5], v[136:137], v[110:111]
	v_add_f64 v[0:1], v[112:113], v[116:117]
	v_add_f64 v[12:13], v[110:111], -v[112:113]
	v_add_f64 v[110:111], v[6:7], v[122:123]
	v_add_f64 v[4:5], v[4:5], v[112:113]
	s_delay_alu instid0(VALU_DEP_4) | instskip(NEXT) | instid1(VALU_DEP_4)
	v_fma_f64 v[0:1], v[0:1], -0.5, v[136:137]
	v_add_f64 v[12:13], v[12:13], v[20:21]
	s_delay_alu instid0(VALU_DEP_3) | instskip(NEXT) | instid1(VALU_DEP_3)
	v_add_f64 v[4:5], v[4:5], v[116:117]
	v_fma_f64 v[6:7], v[10:11], s[14:15], v[0:1]
	v_fma_f64 v[0:1], v[10:11], s[16:17], v[0:1]
	;; [unrolled: 1-line block ×4, first 2 shown]
	v_mul_lo_u16 v16, v158, 41
	v_add_f64 v[108:109], v[4:5], v[120:121]
	v_add_f64 v[4:5], v[122:123], -v[118:119]
	v_fma_f64 v[0:1], v[8:9], s[8:9], v[0:1]
	v_fma_f64 v[6:7], v[8:9], s[2:3], v[6:7]
	v_fma_f64 v[8:9], v[14:15], s[8:9], v[10:11]
	v_fma_f64 v[2:3], v[14:15], s[2:3], v[2:3]
	v_add_f64 v[4:5], v[18:19], v[4:5]
	v_fma_f64 v[116:117], v[12:13], s[12:13], v[0:1]
	v_and_b32_e32 v0, 0xffff, v162
	v_fma_f64 v[112:113], v[12:13], s[12:13], v[6:7]
	s_delay_alu instid0(VALU_DEP_2) | instskip(NEXT) | instid1(VALU_DEP_1)
	v_mul_u32_u24_e32 v0, 25, v0
	v_add_nc_u32_e32 v0, v0, v159
	s_delay_alu instid0(VALU_DEP_1)
	v_lshl_add_u32 v241, v0, 4, v180
	v_and_b32_e32 v0, 0xffff, v160
	ds_store_b128 v241, v[140:143]
	ds_store_b128 v241, v[173:176] offset:80
	ds_store_b128 v241, v[144:147] offset:160
	;; [unrolled: 1-line block ×4, first 2 shown]
	v_mul_u32_u24_e32 v0, 25, v0
	s_delay_alu instid0(VALU_DEP_1) | instskip(NEXT) | instid1(VALU_DEP_1)
	v_add_nc_u32_e32 v0, v0, v161
	v_lshl_add_u32 v255, v0, 4, v180
	v_mad_u16 v0, v163, 25, v164
	ds_store_b128 v255, v[124:127]
	ds_store_b128 v255, v[165:168] offset:80
	ds_store_b128 v255, v[128:131] offset:160
	;; [unrolled: 1-line block ×4, first 2 shown]
	v_fma_f64 v[114:115], v[4:5], s[12:13], v[8:9]
	v_fma_f64 v[118:119], v[4:5], s[12:13], v[2:3]
	v_and_b32_e32 v0, 0xffff, v0
	v_lshrrev_b16 v164, 10, v16
	v_lshrrev_b16 v166, 4, v32
	s_delay_alu instid0(VALU_DEP_3) | instskip(NEXT) | instid1(VALU_DEP_3)
	v_lshl_add_u32 v0, v0, 4, v180
	v_mul_lo_u16 v16, v164, 25
	s_delay_alu instid0(VALU_DEP_3)
	v_mul_lo_u16 v32, v166, 25
	scratch_store_b32 off, v0, off offset:456 ; 4-byte Folded Spill
	ds_store_b128 v0, v[108:111]
	ds_store_b128 v0, v[112:115] offset:80
	ds_store_b128 v0, v[152:155] offset:160
	;; [unrolled: 1-line block ×4, first 2 shown]
	v_mul_lo_u16 v0, v157, 41
	s_waitcnt lgkmcnt(0)
	s_waitcnt_vscnt null, 0x0
	s_barrier
	buffer_gl0_inv
	v_sub_nc_u16 v16, v182, v16
	v_lshrrev_b16 v169, 10, v0
	ds_load_b128 v[112:115], v230 offset:6000
	ds_load_b128 v[212:215], v230 offset:4000
	v_sub_nc_u16 v167, v181, v32
	v_and_b32_e32 v165, 0xff, v16
	v_mul_lo_u16 v0, v169, 25
	ds_load_b128 v[148:151], v230
	ds_load_b128 v[183:186], v230 offset:2000
	v_lshlrev_b16 v32, 6, v167
	v_lshlrev_b32_e32 v28, 6, v165
	v_sub_nc_u16 v0, v156, v0
	s_delay_alu instid0(VALU_DEP_3)
	v_and_b32_e32 v32, 0xffff, v32
	s_clause 0x1
	global_load_b128 v[136:139], v28, s[10:11] offset:320
	global_load_b128 v[132:135], v28, s[10:11] offset:336
	v_and_b32_e32 v168, 0xff, v0
	s_clause 0x1
	global_load_b128 v[140:143], v28, s[10:11] offset:352
	global_load_b128 v[144:147], v28, s[10:11] offset:368
	v_add_co_u32 v32, s18, s10, v32
	v_lshlrev_b32_e32 v12, 6, v168
	v_add_co_ci_u32_e64 v33, null, s11, 0, s18
	s_clause 0x7
	global_load_b128 v[237:240], v12, s[10:11] offset:320
	global_load_b128 v[124:127], v12, s[10:11] offset:336
	;; [unrolled: 1-line block ×4, first 2 shown]
	global_load_b128 v[152:155], v[32:33], off offset:320
	global_load_b128 v[156:159], v[32:33], off offset:336
	;; [unrolled: 1-line block ×4, first 2 shown]
	s_waitcnt vmcnt(7) lgkmcnt(3)
	v_mul_f64 v[0:1], v[114:115], v[239:240]
	v_mul_f64 v[2:3], v[112:113], v[239:240]
	s_delay_alu instid0(VALU_DEP_2) | instskip(NEXT) | instid1(VALU_DEP_2)
	v_fma_f64 v[0:1], v[112:113], v[237:238], -v[0:1]
	v_fma_f64 v[2:3], v[114:115], v[237:238], v[2:3]
	ds_load_b128 v[112:115], v230 offset:12000
	s_waitcnt vmcnt(6) lgkmcnt(0)
	v_mul_f64 v[4:5], v[114:115], v[126:127]
	v_mul_f64 v[6:7], v[112:113], v[126:127]
	s_delay_alu instid0(VALU_DEP_2) | instskip(NEXT) | instid1(VALU_DEP_2)
	v_fma_f64 v[4:5], v[112:113], v[124:125], -v[4:5]
	v_fma_f64 v[6:7], v[114:115], v[124:125], v[6:7]
	ds_load_b128 v[112:115], v230 offset:18000
	s_waitcnt vmcnt(5) lgkmcnt(0)
	v_mul_f64 v[8:9], v[114:115], v[122:123]
	v_mul_f64 v[10:11], v[112:113], v[122:123]
	v_add_f64 v[48:49], v[0:1], -v[4:5]
	s_delay_alu instid0(VALU_DEP_3) | instskip(NEXT) | instid1(VALU_DEP_3)
	v_fma_f64 v[8:9], v[112:113], v[120:121], -v[8:9]
	v_fma_f64 v[10:11], v[114:115], v[120:121], v[10:11]
	ds_load_b128 v[112:115], v230 offset:24000
	s_waitcnt vmcnt(4) lgkmcnt(0)
	v_mul_f64 v[12:13], v[114:115], v[130:131]
	v_mul_f64 v[14:15], v[112:113], v[130:131]
	v_add_f64 v[170:171], v[4:5], -v[8:9]
	v_add_f64 v[54:55], v[6:7], v[10:11]
	v_add_f64 v[160:161], v[6:7], -v[10:11]
	v_fma_f64 v[12:13], v[112:113], v[128:129], -v[12:13]
	v_fma_f64 v[14:15], v[114:115], v[128:129], v[14:15]
	ds_load_b128 v[112:115], v230 offset:8000
	v_fma_f64 v[54:55], v[54:55], -0.5, v[150:151]
	s_waitcnt lgkmcnt(0)
	v_mul_f64 v[16:17], v[114:115], v[138:139]
	v_mul_f64 v[18:19], v[112:113], v[138:139]
	v_add_f64 v[50:51], v[12:13], -v[8:9]
	v_add_f64 v[52:53], v[14:15], -v[10:11]
	;; [unrolled: 1-line block ×4, first 2 shown]
	v_fma_f64 v[16:17], v[112:113], v[136:137], -v[16:17]
	v_fma_f64 v[18:19], v[114:115], v[136:137], v[18:19]
	ds_load_b128 v[112:115], v230 offset:14000
	v_add_f64 v[48:49], v[48:49], v[50:51]
	v_add_f64 v[50:51], v[2:3], -v[6:7]
	s_waitcnt lgkmcnt(0)
	v_mul_f64 v[20:21], v[114:115], v[134:135]
	v_mul_f64 v[22:23], v[112:113], v[134:135]
	s_delay_alu instid0(VALU_DEP_3) | instskip(SKIP_1) | instid1(VALU_DEP_4)
	v_add_f64 v[50:51], v[50:51], v[52:53]
	v_add_f64 v[52:53], v[4:5], v[8:9]
	v_fma_f64 v[20:21], v[112:113], v[132:133], -v[20:21]
	s_delay_alu instid0(VALU_DEP_4)
	v_fma_f64 v[22:23], v[114:115], v[132:133], v[22:23]
	ds_load_b128 v[112:115], v230 offset:20000
	s_waitcnt lgkmcnt(0)
	v_mul_f64 v[24:25], v[114:115], v[142:143]
	v_mul_f64 v[26:27], v[112:113], v[142:143]
	v_fma_f64 v[52:53], v[52:53], -0.5, v[148:149]
	s_delay_alu instid0(VALU_DEP_3) | instskip(NEXT) | instid1(VALU_DEP_3)
	v_fma_f64 v[24:25], v[112:113], v[140:141], -v[24:25]
	v_fma_f64 v[26:27], v[114:115], v[140:141], v[26:27]
	ds_load_b128 v[112:115], v230 offset:26000
	s_waitcnt lgkmcnt(0)
	v_mul_f64 v[28:29], v[114:115], v[146:147]
	v_mul_f64 v[30:31], v[112:113], v[146:147]
	s_delay_alu instid0(VALU_DEP_2) | instskip(NEXT) | instid1(VALU_DEP_2)
	v_fma_f64 v[28:29], v[112:113], v[144:145], -v[28:29]
	v_fma_f64 v[30:31], v[114:115], v[144:145], v[30:31]
	ds_load_b128 v[112:115], v230 offset:10000
	s_waitcnt vmcnt(3) lgkmcnt(0)
	v_mul_f64 v[34:35], v[114:115], v[154:155]
	v_mul_f64 v[36:37], v[112:113], v[154:155]
	s_delay_alu instid0(VALU_DEP_2) | instskip(NEXT) | instid1(VALU_DEP_2)
	v_fma_f64 v[34:35], v[112:113], v[152:153], -v[34:35]
	v_fma_f64 v[36:37], v[114:115], v[152:153], v[36:37]
	ds_load_b128 v[112:115], v230 offset:16000
	s_waitcnt vmcnt(2) lgkmcnt(0)
	;; [unrolled: 7-line block ×4, first 2 shown]
	s_barrier
	buffer_gl0_inv
	v_mul_f64 v[32:33], v[114:115], v[194:195]
	v_mul_f64 v[46:47], v[112:113], v[194:195]
	s_delay_alu instid0(VALU_DEP_2) | instskip(NEXT) | instid1(VALU_DEP_2)
	v_fma_f64 v[32:33], v[112:113], v[192:193], -v[32:33]
	v_fma_f64 v[46:47], v[114:115], v[192:193], v[46:47]
	v_fma_f64 v[112:113], v[56:57], s[14:15], v[52:53]
	;; [unrolled: 1-line block ×5, first 2 shown]
	s_delay_alu instid0(VALU_DEP_4) | instskip(NEXT) | instid1(VALU_DEP_4)
	v_fma_f64 v[112:113], v[160:161], s[2:3], v[112:113]
	v_fma_f64 v[114:115], v[170:171], s[8:9], v[114:115]
	s_delay_alu instid0(VALU_DEP_4) | instskip(NEXT) | instid1(VALU_DEP_4)
	v_fma_f64 v[52:53], v[160:161], s[8:9], v[52:53]
	v_fma_f64 v[54:55], v[170:171], s[2:3], v[54:55]
	;; [unrolled: 3-line block ×4, first 2 shown]
	v_add_f64 v[52:53], v[148:149], v[0:1]
	v_add_f64 v[54:55], v[150:151], v[2:3]
	;; [unrolled: 1-line block ×4, first 2 shown]
	v_add_f64 v[0:1], v[4:5], -v[0:1]
	v_add_f64 v[2:3], v[6:7], -v[2:3]
	v_add_f64 v[4:5], v[52:53], v[4:5]
	v_add_f64 v[52:53], v[54:55], v[6:7]
	v_fma_f64 v[48:49], v[48:49], -0.5, v[148:149]
	v_fma_f64 v[50:51], v[50:51], -0.5, v[150:151]
	s_delay_alu instid0(VALU_DEP_4) | instskip(NEXT) | instid1(VALU_DEP_4)
	v_add_f64 v[4:5], v[4:5], v[8:9]
	v_add_f64 v[6:7], v[52:53], v[10:11]
	v_add_f64 v[8:9], v[8:9], -v[12:13]
	s_delay_alu instid0(VALU_DEP_3) | instskip(NEXT) | instid1(VALU_DEP_3)
	v_add_f64 v[148:149], v[4:5], v[12:13]
	v_add_f64 v[150:151], v[6:7], v[14:15]
	v_add_f64 v[4:5], v[10:11], -v[14:15]
	v_fma_f64 v[6:7], v[160:161], s[16:17], v[48:49]
	v_fma_f64 v[10:11], v[160:161], s[14:15], v[48:49]
	;; [unrolled: 1-line block ×4, first 2 shown]
	v_add_f64 v[0:1], v[0:1], v[8:9]
	v_add_f64 v[48:49], v[20:21], -v[24:25]
	v_add_f64 v[2:3], v[2:3], v[4:5]
	v_fma_f64 v[4:5], v[56:57], s[2:3], v[6:7]
	v_fma_f64 v[6:7], v[56:57], s[8:9], v[10:11]
	;; [unrolled: 1-line block ×4, first 2 shown]
	v_add_f64 v[14:15], v[16:17], -v[28:29]
	v_fma_f64 v[160:161], v[0:1], s[12:13], v[4:5]
	v_fma_f64 v[173:174], v[0:1], s[12:13], v[6:7]
	;; [unrolled: 1-line block ×4, first 2 shown]
	v_add_f64 v[0:1], v[16:17], -v[20:21]
	v_add_f64 v[2:3], v[28:29], -v[24:25]
	;; [unrolled: 1-line block ×3, first 2 shown]
	v_add_f64 v[6:7], v[22:23], v[26:27]
	v_add_f64 v[8:9], v[18:19], -v[30:31]
	v_add_f64 v[10:11], v[22:23], -v[26:27]
	v_add_f64 v[0:1], v[0:1], v[2:3]
	v_add_f64 v[2:3], v[18:19], -v[22:23]
	v_fma_f64 v[6:7], v[6:7], -0.5, v[185:186]
	s_delay_alu instid0(VALU_DEP_2) | instskip(SKIP_1) | instid1(VALU_DEP_3)
	v_add_f64 v[2:3], v[2:3], v[4:5]
	v_add_f64 v[4:5], v[20:21], v[24:25]
	v_fma_f64 v[50:51], v[14:15], s[16:17], v[6:7]
	v_fma_f64 v[6:7], v[14:15], s[14:15], v[6:7]
	s_delay_alu instid0(VALU_DEP_3) | instskip(NEXT) | instid1(VALU_DEP_3)
	v_fma_f64 v[4:5], v[4:5], -0.5, v[183:184]
	v_fma_f64 v[50:51], v[48:49], s[8:9], v[50:51]
	s_delay_alu instid0(VALU_DEP_3) | instskip(NEXT) | instid1(VALU_DEP_3)
	v_fma_f64 v[6:7], v[48:49], s[2:3], v[6:7]
	v_fma_f64 v[12:13], v[8:9], s[14:15], v[4:5]
	;; [unrolled: 1-line block ×3, first 2 shown]
	s_delay_alu instid0(VALU_DEP_3)
	v_fma_f64 v[202:203], v[2:3], s[12:13], v[6:7]
	v_add_f64 v[6:7], v[185:186], v[18:19]
	v_fma_f64 v[198:199], v[2:3], s[12:13], v[50:51]
	v_add_f64 v[2:3], v[18:19], v[30:31]
	v_fma_f64 v[12:13], v[10:11], s[2:3], v[12:13]
	v_fma_f64 v[4:5], v[10:11], s[8:9], v[4:5]
	v_add_f64 v[6:7], v[6:7], v[22:23]
	s_delay_alu instid0(VALU_DEP_4) | instskip(NEXT) | instid1(VALU_DEP_4)
	v_fma_f64 v[2:3], v[2:3], -0.5, v[185:186]
	v_fma_f64 v[196:197], v[0:1], s[12:13], v[12:13]
	s_delay_alu instid0(VALU_DEP_4)
	v_fma_f64 v[200:201], v[0:1], s[12:13], v[4:5]
	v_add_f64 v[4:5], v[183:184], v[16:17]
	v_add_f64 v[0:1], v[16:17], v[28:29]
	;; [unrolled: 1-line block ×3, first 2 shown]
	v_add_f64 v[12:13], v[20:21], -v[16:17]
	v_add_f64 v[16:17], v[22:23], -v[18:19]
	;; [unrolled: 1-line block ×3, first 2 shown]
	v_add_f64 v[4:5], v[4:5], v[20:21]
	v_fma_f64 v[0:1], v[0:1], -0.5, v[183:184]
	v_add_f64 v[185:186], v[6:7], v[30:31]
	v_add_f64 v[20:21], v[32:33], -v[42:43]
	v_add_f64 v[12:13], v[12:13], v[18:19]
	v_add_f64 v[4:5], v[4:5], v[24:25]
	v_fma_f64 v[6:7], v[10:11], s[16:17], v[0:1]
	v_fma_f64 v[0:1], v[10:11], s[14:15], v[0:1]
	;; [unrolled: 1-line block ×4, first 2 shown]
	v_add_f64 v[183:184], v[4:5], v[28:29]
	v_add_f64 v[4:5], v[26:27], -v[30:31]
	v_fma_f64 v[0:1], v[8:9], s[8:9], v[0:1]
	v_fma_f64 v[6:7], v[8:9], s[2:3], v[6:7]
	;; [unrolled: 1-line block ×4, first 2 shown]
	v_add_f64 v[14:15], v[38:39], -v[42:43]
	v_add_f64 v[10:11], v[36:37], -v[46:47]
	v_add_f64 v[4:5], v[16:17], v[4:5]
	v_fma_f64 v[208:209], v[12:13], s[12:13], v[0:1]
	v_add_f64 v[0:1], v[38:39], -v[34:35]
	v_fma_f64 v[204:205], v[12:13], s[12:13], v[6:7]
	v_add_f64 v[6:7], v[36:37], v[46:47]
	v_add_f64 v[16:17], v[34:35], -v[32:33]
	v_fma_f64 v[210:211], v[4:5], s[12:13], v[2:3]
	v_add_f64 v[2:3], v[42:43], -v[32:33]
	v_fma_f64 v[206:207], v[4:5], s[12:13], v[8:9]
	v_add_f64 v[4:5], v[44:45], -v[46:47]
	v_fma_f64 v[6:7], v[6:7], -0.5, v[214:215]
	v_add_f64 v[8:9], v[40:41], -v[44:45]
	v_add_f64 v[0:1], v[0:1], v[2:3]
	v_add_f64 v[2:3], v[40:41], -v[36:37]
	s_delay_alu instid0(VALU_DEP_4) | instskip(SKIP_1) | instid1(VALU_DEP_3)
	v_fma_f64 v[18:19], v[14:15], s[14:15], v[6:7]
	v_fma_f64 v[6:7], v[14:15], s[16:17], v[6:7]
	v_add_f64 v[2:3], v[2:3], v[4:5]
	v_add_f64 v[4:5], v[34:35], v[32:33]
	s_delay_alu instid0(VALU_DEP_4) | instskip(NEXT) | instid1(VALU_DEP_4)
	v_fma_f64 v[18:19], v[16:17], s[8:9], v[18:19]
	v_fma_f64 v[6:7], v[16:17], s[2:3], v[6:7]
	s_delay_alu instid0(VALU_DEP_3) | instskip(NEXT) | instid1(VALU_DEP_3)
	v_fma_f64 v[4:5], v[4:5], -0.5, v[212:213]
	v_fma_f64 v[218:219], v[2:3], s[12:13], v[18:19]
	s_delay_alu instid0(VALU_DEP_3)
	v_fma_f64 v[222:223], v[2:3], s[12:13], v[6:7]
	v_add_f64 v[6:7], v[212:213], v[34:35]
	v_add_f64 v[2:3], v[40:41], v[44:45]
	v_add_f64 v[18:19], v[34:35], -v[38:39]
	v_fma_f64 v[12:13], v[8:9], s[16:17], v[4:5]
	v_fma_f64 v[4:5], v[8:9], s[14:15], v[4:5]
	v_add_f64 v[6:7], v[6:7], v[38:39]
	v_fma_f64 v[2:3], v[2:3], -0.5, v[214:215]
	s_delay_alu instid0(VALU_DEP_4) | instskip(NEXT) | instid1(VALU_DEP_4)
	v_fma_f64 v[12:13], v[10:11], s[2:3], v[12:13]
	v_fma_f64 v[4:5], v[10:11], s[8:9], v[4:5]
	s_delay_alu instid0(VALU_DEP_4) | instskip(NEXT) | instid1(VALU_DEP_3)
	v_add_f64 v[6:7], v[6:7], v[42:43]
	v_fma_f64 v[216:217], v[0:1], s[12:13], v[12:13]
	s_delay_alu instid0(VALU_DEP_3) | instskip(SKIP_3) | instid1(VALU_DEP_3)
	v_fma_f64 v[220:221], v[0:1], s[12:13], v[4:5]
	v_add_f64 v[4:5], v[214:215], v[36:37]
	v_add_f64 v[0:1], v[38:39], v[42:43]
	v_add_f64 v[12:13], v[36:37], -v[40:41]
	v_add_f64 v[4:5], v[4:5], v[40:41]
	s_delay_alu instid0(VALU_DEP_3) | instskip(SKIP_2) | instid1(VALU_DEP_1)
	v_fma_f64 v[0:1], v[0:1], -0.5, v[212:213]
	v_add_f64 v[212:213], v[6:7], v[32:33]
	v_mul_u32_u24_e32 v32, 0x625, v172
	v_lshrrev_b32_e32 v32, 16, v32
	s_delay_alu instid0(VALU_DEP_1) | instskip(NEXT) | instid1(VALU_DEP_1)
	v_sub_nc_u16 v33, v181, v32
	v_lshrrev_b16 v33, 1, v33
	s_delay_alu instid0(VALU_DEP_1) | instskip(NEXT) | instid1(VALU_DEP_1)
	v_add_nc_u16 v32, v33, v32
	v_lshrrev_b16 v32, 6, v32
	s_delay_alu instid0(VALU_DEP_1)
	v_mul_lo_u16 v32, 0x7d, v32
	v_add_f64 v[4:5], v[4:5], v[44:45]
	v_fma_f64 v[6:7], v[10:11], s[14:15], v[0:1]
	v_fma_f64 v[0:1], v[10:11], s[16:17], v[0:1]
	;; [unrolled: 1-line block ×4, first 2 shown]
	v_add_f64 v[16:17], v[18:19], v[20:21]
	v_add_f64 v[214:215], v[4:5], v[46:47]
	v_add_f64 v[4:5], v[46:47], -v[44:45]
	v_fma_f64 v[0:1], v[8:9], s[8:9], v[0:1]
	v_fma_f64 v[6:7], v[8:9], s[2:3], v[6:7]
	;; [unrolled: 1-line block ×4, first 2 shown]
	v_add_f64 v[4:5], v[12:13], v[4:5]
	v_fma_f64 v[243:244], v[16:17], s[12:13], v[0:1]
	v_and_b32_e32 v0, 0xffff, v169
	v_fma_f64 v[224:225], v[16:17], s[12:13], v[6:7]
	v_lshlrev_b32_e32 v12, 6, v58
	s_delay_alu instid0(VALU_DEP_3) | instskip(NEXT) | instid1(VALU_DEP_1)
	v_mul_u32_u24_e32 v0, 0x7d, v0
	v_add_nc_u32_e32 v0, v0, v168
	s_delay_alu instid0(VALU_DEP_1)
	v_lshl_add_u32 v242, v0, 4, v180
	v_and_b32_e32 v0, 0xffff, v164
	ds_store_b128 v242, v[148:151]
	ds_store_b128 v242, v[112:115] offset:400
	ds_store_b128 v242, v[160:163] offset:800
	;; [unrolled: 1-line block ×4, first 2 shown]
	v_mul_u32_u24_e32 v0, 0x7d, v0
	s_delay_alu instid0(VALU_DEP_1) | instskip(NEXT) | instid1(VALU_DEP_1)
	v_add_nc_u32_e32 v0, v0, v165
	v_lshl_add_u32 v0, v0, 4, v180
	v_fma_f64 v[226:227], v[4:5], s[12:13], v[8:9]
	v_fma_f64 v[245:246], v[4:5], s[12:13], v[2:3]
	scratch_store_b32 off, v0, off offset:460 ; 4-byte Folded Spill
	ds_store_b128 v0, v[183:186]
	ds_store_b128 v0, v[196:199] offset:400
	ds_store_b128 v0, v[204:207] offset:800
	;; [unrolled: 1-line block ×4, first 2 shown]
	v_mad_u16 v0, 0x7d, v166, v167
	v_sub_nc_u16 v183, v181, v32
	s_delay_alu instid0(VALU_DEP_2) | instskip(NEXT) | instid1(VALU_DEP_2)
	v_and_b32_e32 v0, 0xffff, v0
	v_lshlrev_b16 v32, 6, v183
	s_delay_alu instid0(VALU_DEP_2)
	v_lshl_add_u32 v229, v0, 4, v180
	ds_store_b128 v229, v[212:215]
	ds_store_b128 v229, v[224:227] offset:400
	ds_store_b128 v229, v[216:219] offset:800
	;; [unrolled: 1-line block ×4, first 2 shown]
	s_waitcnt lgkmcnt(0)
	s_waitcnt_vscnt null, 0x0
	s_barrier
	buffer_gl0_inv
	s_clause 0x3
	global_load_b128 v[112:115], v12, s[10:11] offset:1920
	global_load_b128 v[176:179], v12, s[10:11] offset:1936
	;; [unrolled: 1-line block ×4, first 2 shown]
	ds_load_b128 v[116:119], v230 offset:6000
	v_and_b32_e32 v32, 0xffff, v32
	ds_load_b128 v[160:163], v230
	ds_load_b128 v[247:250], v230 offset:4000
	scratch_store_b32 off, v58, off offset:248 ; 4-byte Folded Spill
	v_add_co_u32 v32, s18, s10, v32
	s_delay_alu instid0(VALU_DEP_1)
	v_add_co_ci_u32_e64 v33, null, s11, 0, s18
	s_clause 0x3
	global_load_b128 v[204:207], v[32:33], off offset:1920
	global_load_b128 v[200:203], v[32:33], off offset:1936
	;; [unrolled: 1-line block ×4, first 2 shown]
	s_waitcnt vmcnt(7) lgkmcnt(2)
	v_mul_f64 v[0:1], v[118:119], v[114:115]
	v_mul_f64 v[2:3], v[116:117], v[114:115]
	s_delay_alu instid0(VALU_DEP_2) | instskip(NEXT) | instid1(VALU_DEP_2)
	v_fma_f64 v[0:1], v[116:117], v[112:113], -v[0:1]
	v_fma_f64 v[2:3], v[118:119], v[112:113], v[2:3]
	ds_load_b128 v[116:119], v230 offset:12000
	s_waitcnt vmcnt(6) lgkmcnt(0)
	v_mul_f64 v[4:5], v[118:119], v[178:179]
	v_mul_f64 v[6:7], v[116:117], v[178:179]
	s_delay_alu instid0(VALU_DEP_2) | instskip(NEXT) | instid1(VALU_DEP_2)
	v_fma_f64 v[4:5], v[116:117], v[176:177], -v[4:5]
	v_fma_f64 v[6:7], v[118:119], v[176:177], v[6:7]
	ds_load_b128 v[116:119], v230 offset:18000
	s_waitcnt vmcnt(5) lgkmcnt(0)
	v_mul_f64 v[8:9], v[118:119], v[170:171]
	v_mul_f64 v[10:11], v[116:117], v[170:171]
	v_add_f64 v[48:49], v[0:1], -v[4:5]
	s_delay_alu instid0(VALU_DEP_3) | instskip(NEXT) | instid1(VALU_DEP_3)
	v_fma_f64 v[8:9], v[116:117], v[168:169], -v[8:9]
	v_fma_f64 v[10:11], v[118:119], v[168:169], v[10:11]
	ds_load_b128 v[116:119], v230 offset:24000
	s_waitcnt vmcnt(4) lgkmcnt(0)
	v_mul_f64 v[12:13], v[118:119], v[166:167]
	v_mul_f64 v[14:15], v[116:117], v[166:167]
	v_add_f64 v[196:197], v[4:5], -v[8:9]
	v_add_f64 v[54:55], v[6:7], v[10:11]
	v_add_f64 v[172:173], v[6:7], -v[10:11]
	v_fma_f64 v[12:13], v[116:117], v[164:165], -v[12:13]
	v_fma_f64 v[14:15], v[118:119], v[164:165], v[14:15]
	ds_load_b128 v[116:119], v230 offset:8000
	v_fma_f64 v[54:55], v[54:55], -0.5, v[162:163]
	s_waitcnt lgkmcnt(0)
	v_mul_f64 v[16:17], v[118:119], v[114:115]
	v_mul_f64 v[18:19], v[116:117], v[114:115]
	v_add_f64 v[50:51], v[12:13], -v[8:9]
	v_add_f64 v[52:53], v[14:15], -v[10:11]
	;; [unrolled: 1-line block ×4, first 2 shown]
	v_fma_f64 v[16:17], v[116:117], v[112:113], -v[16:17]
	v_fma_f64 v[18:19], v[118:119], v[112:113], v[18:19]
	ds_load_b128 v[116:119], v230 offset:14000
	v_add_f64 v[48:49], v[48:49], v[50:51]
	v_add_f64 v[50:51], v[2:3], -v[6:7]
	s_waitcnt lgkmcnt(0)
	v_mul_f64 v[20:21], v[118:119], v[178:179]
	v_mul_f64 v[22:23], v[116:117], v[178:179]
	s_delay_alu instid0(VALU_DEP_3) | instskip(SKIP_1) | instid1(VALU_DEP_4)
	v_add_f64 v[50:51], v[50:51], v[52:53]
	v_add_f64 v[52:53], v[4:5], v[8:9]
	v_fma_f64 v[20:21], v[116:117], v[176:177], -v[20:21]
	s_delay_alu instid0(VALU_DEP_4)
	v_fma_f64 v[22:23], v[118:119], v[176:177], v[22:23]
	ds_load_b128 v[116:119], v230 offset:20000
	s_waitcnt lgkmcnt(0)
	v_mul_f64 v[24:25], v[118:119], v[170:171]
	v_mul_f64 v[26:27], v[116:117], v[170:171]
	v_fma_f64 v[52:53], v[52:53], -0.5, v[160:161]
	s_delay_alu instid0(VALU_DEP_3) | instskip(NEXT) | instid1(VALU_DEP_3)
	v_fma_f64 v[24:25], v[116:117], v[168:169], -v[24:25]
	v_fma_f64 v[26:27], v[118:119], v[168:169], v[26:27]
	ds_load_b128 v[116:119], v230 offset:26000
	s_waitcnt lgkmcnt(0)
	v_mul_f64 v[28:29], v[118:119], v[166:167]
	v_mul_f64 v[30:31], v[116:117], v[166:167]
	s_delay_alu instid0(VALU_DEP_2) | instskip(NEXT) | instid1(VALU_DEP_2)
	v_fma_f64 v[28:29], v[116:117], v[164:165], -v[28:29]
	v_fma_f64 v[30:31], v[118:119], v[164:165], v[30:31]
	ds_load_b128 v[116:119], v230 offset:10000
	s_waitcnt vmcnt(3) lgkmcnt(0)
	v_mul_f64 v[34:35], v[118:119], v[206:207]
	v_mul_f64 v[36:37], v[116:117], v[206:207]
	s_delay_alu instid0(VALU_DEP_2) | instskip(NEXT) | instid1(VALU_DEP_2)
	v_fma_f64 v[34:35], v[116:117], v[204:205], -v[34:35]
	v_fma_f64 v[36:37], v[118:119], v[204:205], v[36:37]
	ds_load_b128 v[116:119], v230 offset:16000
	s_waitcnt vmcnt(2) lgkmcnt(0)
	v_mul_f64 v[38:39], v[118:119], v[202:203]
	v_mul_f64 v[40:41], v[116:117], v[202:203]
	s_delay_alu instid0(VALU_DEP_2) | instskip(NEXT) | instid1(VALU_DEP_2)
	v_fma_f64 v[38:39], v[116:117], v[200:201], -v[38:39]
	v_fma_f64 v[40:41], v[118:119], v[200:201], v[40:41]
	ds_load_b128 v[116:119], v230 offset:22000
	s_waitcnt vmcnt(1) lgkmcnt(0)
	v_mul_f64 v[42:43], v[118:119], v[210:211]
	v_mul_f64 v[44:45], v[116:117], v[210:211]
	s_delay_alu instid0(VALU_DEP_2) | instskip(NEXT) | instid1(VALU_DEP_2)
	v_fma_f64 v[42:43], v[116:117], v[208:209], -v[42:43]
	v_fma_f64 v[44:45], v[118:119], v[208:209], v[44:45]
	ds_load_b128 v[116:119], v230 offset:28000
	s_waitcnt vmcnt(0) lgkmcnt(0)
	v_mul_f64 v[32:33], v[118:119], v[214:215]
	v_mul_f64 v[46:47], v[116:117], v[214:215]
	s_delay_alu instid0(VALU_DEP_2) | instskip(NEXT) | instid1(VALU_DEP_2)
	v_fma_f64 v[32:33], v[116:117], v[212:213], -v[32:33]
	v_fma_f64 v[46:47], v[118:119], v[212:213], v[46:47]
	v_fma_f64 v[116:117], v[56:57], s[14:15], v[52:53]
	;; [unrolled: 1-line block ×5, first 2 shown]
	s_delay_alu instid0(VALU_DEP_4) | instskip(NEXT) | instid1(VALU_DEP_4)
	v_fma_f64 v[116:117], v[172:173], s[2:3], v[116:117]
	v_fma_f64 v[118:119], v[196:197], s[8:9], v[118:119]
	s_delay_alu instid0(VALU_DEP_4) | instskip(NEXT) | instid1(VALU_DEP_4)
	v_fma_f64 v[52:53], v[172:173], s[8:9], v[52:53]
	v_fma_f64 v[54:55], v[196:197], s[2:3], v[54:55]
	s_delay_alu instid0(VALU_DEP_4) | instskip(NEXT) | instid1(VALU_DEP_4)
	v_fma_f64 v[116:117], v[48:49], s[12:13], v[116:117]
	v_fma_f64 v[118:119], v[50:51], s[12:13], v[118:119]
	s_delay_alu instid0(VALU_DEP_4) | instskip(NEXT) | instid1(VALU_DEP_4)
	v_fma_f64 v[148:149], v[48:49], s[12:13], v[52:53]
	v_fma_f64 v[150:151], v[50:51], s[12:13], v[54:55]
	v_add_f64 v[52:53], v[160:161], v[0:1]
	v_add_f64 v[54:55], v[162:163], v[2:3]
	;; [unrolled: 1-line block ×4, first 2 shown]
	v_add_f64 v[0:1], v[4:5], -v[0:1]
	v_add_f64 v[2:3], v[6:7], -v[2:3]
	v_add_f64 v[4:5], v[52:53], v[4:5]
	v_add_f64 v[52:53], v[54:55], v[6:7]
	v_fma_f64 v[48:49], v[48:49], -0.5, v[160:161]
	v_fma_f64 v[50:51], v[50:51], -0.5, v[162:163]
	s_delay_alu instid0(VALU_DEP_4) | instskip(NEXT) | instid1(VALU_DEP_4)
	v_add_f64 v[4:5], v[4:5], v[8:9]
	v_add_f64 v[6:7], v[52:53], v[10:11]
	v_add_f64 v[8:9], v[8:9], -v[12:13]
	s_delay_alu instid0(VALU_DEP_3) | instskip(NEXT) | instid1(VALU_DEP_3)
	v_add_f64 v[184:185], v[4:5], v[12:13]
	v_add_f64 v[186:187], v[6:7], v[14:15]
	v_add_f64 v[4:5], v[10:11], -v[14:15]
	v_fma_f64 v[6:7], v[172:173], s[16:17], v[48:49]
	v_fma_f64 v[10:11], v[172:173], s[14:15], v[48:49]
	;; [unrolled: 1-line block ×4, first 2 shown]
	v_add_f64 v[0:1], v[0:1], v[8:9]
	ds_load_b128 v[196:199], v230 offset:2000
	v_add_f64 v[48:49], v[20:21], -v[24:25]
	s_waitcnt lgkmcnt(0)
	s_waitcnt_vscnt null, 0x0
	s_barrier
	buffer_gl0_inv
	v_add_f64 v[2:3], v[2:3], v[4:5]
	v_fma_f64 v[4:5], v[56:57], s[2:3], v[6:7]
	v_fma_f64 v[6:7], v[56:57], s[8:9], v[10:11]
	;; [unrolled: 1-line block ×4, first 2 shown]
	v_add_f64 v[14:15], v[16:17], -v[28:29]
	v_fma_f64 v[160:161], v[0:1], s[12:13], v[4:5]
	v_fma_f64 v[172:173], v[0:1], s[12:13], v[6:7]
	;; [unrolled: 1-line block ×4, first 2 shown]
	v_add_f64 v[0:1], v[16:17], -v[20:21]
	v_add_f64 v[2:3], v[28:29], -v[24:25]
	;; [unrolled: 1-line block ×3, first 2 shown]
	v_add_f64 v[6:7], v[22:23], v[26:27]
	v_add_f64 v[8:9], v[18:19], -v[30:31]
	v_add_f64 v[10:11], v[22:23], -v[26:27]
	v_add_f64 v[0:1], v[0:1], v[2:3]
	v_add_f64 v[2:3], v[18:19], -v[22:23]
	v_fma_f64 v[6:7], v[6:7], -0.5, v[198:199]
	s_delay_alu instid0(VALU_DEP_2) | instskip(SKIP_1) | instid1(VALU_DEP_3)
	v_add_f64 v[2:3], v[2:3], v[4:5]
	v_add_f64 v[4:5], v[20:21], v[24:25]
	v_fma_f64 v[50:51], v[14:15], s[16:17], v[6:7]
	v_fma_f64 v[6:7], v[14:15], s[14:15], v[6:7]
	s_delay_alu instid0(VALU_DEP_3) | instskip(NEXT) | instid1(VALU_DEP_3)
	v_fma_f64 v[4:5], v[4:5], -0.5, v[196:197]
	v_fma_f64 v[50:51], v[48:49], s[8:9], v[50:51]
	s_delay_alu instid0(VALU_DEP_3) | instskip(NEXT) | instid1(VALU_DEP_3)
	v_fma_f64 v[6:7], v[48:49], s[2:3], v[6:7]
	v_fma_f64 v[12:13], v[8:9], s[14:15], v[4:5]
	;; [unrolled: 1-line block ×3, first 2 shown]
	s_delay_alu instid0(VALU_DEP_3)
	v_fma_f64 v[222:223], v[2:3], s[12:13], v[6:7]
	v_add_f64 v[6:7], v[198:199], v[18:19]
	v_fma_f64 v[218:219], v[2:3], s[12:13], v[50:51]
	v_add_f64 v[2:3], v[18:19], v[30:31]
	v_fma_f64 v[12:13], v[10:11], s[2:3], v[12:13]
	v_fma_f64 v[4:5], v[10:11], s[8:9], v[4:5]
	v_add_f64 v[6:7], v[6:7], v[22:23]
	s_delay_alu instid0(VALU_DEP_4) | instskip(NEXT) | instid1(VALU_DEP_4)
	v_fma_f64 v[2:3], v[2:3], -0.5, v[198:199]
	v_fma_f64 v[216:217], v[0:1], s[12:13], v[12:13]
	s_delay_alu instid0(VALU_DEP_4)
	v_fma_f64 v[220:221], v[0:1], s[12:13], v[4:5]
	v_add_f64 v[4:5], v[196:197], v[16:17]
	v_add_f64 v[0:1], v[16:17], v[28:29]
	;; [unrolled: 1-line block ×3, first 2 shown]
	v_add_f64 v[12:13], v[20:21], -v[16:17]
	v_add_f64 v[16:17], v[22:23], -v[18:19]
	;; [unrolled: 1-line block ×4, first 2 shown]
	v_add_f64 v[4:5], v[4:5], v[20:21]
	v_fma_f64 v[0:1], v[0:1], -0.5, v[196:197]
	v_add_f64 v[198:199], v[6:7], v[30:31]
	v_add_f64 v[20:21], v[34:35], -v[38:39]
	v_add_f64 v[12:13], v[12:13], v[18:19]
	v_add_f64 v[4:5], v[4:5], v[24:25]
	v_fma_f64 v[6:7], v[10:11], s[16:17], v[0:1]
	v_fma_f64 v[0:1], v[10:11], s[14:15], v[0:1]
	;; [unrolled: 1-line block ×4, first 2 shown]
	v_add_f64 v[24:25], v[32:33], -v[42:43]
	v_add_f64 v[196:197], v[4:5], v[28:29]
	v_add_f64 v[4:5], v[26:27], -v[30:31]
	v_fma_f64 v[0:1], v[8:9], s[8:9], v[0:1]
	v_fma_f64 v[6:7], v[8:9], s[2:3], v[6:7]
	;; [unrolled: 1-line block ×4, first 2 shown]
	v_add_f64 v[14:15], v[38:39], -v[42:43]
	v_add_f64 v[10:11], v[36:37], -v[46:47]
	v_add_f64 v[4:5], v[16:17], v[4:5]
	v_fma_f64 v[243:244], v[12:13], s[12:13], v[0:1]
	v_add_f64 v[0:1], v[38:39], -v[34:35]
	v_fma_f64 v[224:225], v[12:13], s[12:13], v[6:7]
	v_add_f64 v[6:7], v[36:37], v[46:47]
	v_add_f64 v[16:17], v[34:35], -v[32:33]
	v_fma_f64 v[245:246], v[4:5], s[12:13], v[2:3]
	v_add_f64 v[2:3], v[42:43], -v[32:33]
	v_fma_f64 v[226:227], v[4:5], s[12:13], v[8:9]
	v_add_f64 v[4:5], v[44:45], -v[46:47]
	v_fma_f64 v[6:7], v[6:7], -0.5, v[249:250]
	v_add_f64 v[8:9], v[40:41], -v[44:45]
	ds_store_b128 v230, v[184:187]
	ds_store_b128 v230, v[196:199] offset:10000
	ds_store_b128 v230, v[116:119] offset:2000
	ds_store_b128 v230, v[160:163] offset:4000
	ds_store_b128 v230, v[172:175] offset:6000
	ds_store_b128 v230, v[148:151] offset:8000
	ds_store_b128 v230, v[216:219] offset:12000
	ds_store_b128 v230, v[224:227] offset:14000
	ds_store_b128 v230, v[243:246] offset:16000
	ds_store_b128 v230, v[220:223] offset:18000
	v_add_f64 v[0:1], v[0:1], v[2:3]
	v_add_f64 v[2:3], v[40:41], -v[36:37]
	v_fma_f64 v[18:19], v[14:15], s[14:15], v[6:7]
	v_fma_f64 v[6:7], v[14:15], s[16:17], v[6:7]
	s_delay_alu instid0(VALU_DEP_3) | instskip(SKIP_1) | instid1(VALU_DEP_4)
	v_add_f64 v[2:3], v[2:3], v[4:5]
	v_add_f64 v[4:5], v[34:35], v[32:33]
	v_fma_f64 v[18:19], v[16:17], s[8:9], v[18:19]
	s_delay_alu instid0(VALU_DEP_4) | instskip(NEXT) | instid1(VALU_DEP_3)
	v_fma_f64 v[6:7], v[16:17], s[2:3], v[6:7]
	v_fma_f64 v[4:5], v[4:5], -0.5, v[247:248]
	s_delay_alu instid0(VALU_DEP_3) | instskip(SKIP_1) | instid1(VALU_DEP_4)
	v_fma_f64 v[253:254], v[2:3], s[12:13], v[18:19]
	v_add_f64 v[18:19], v[249:250], v[36:37]
	v_fma_f64 v[2:3], v[2:3], s[12:13], v[6:7]
	v_add_f64 v[6:7], v[40:41], v[44:45]
	v_lshlrev_b32_e32 v36, 5, v58
	v_fma_f64 v[12:13], v[8:9], s[16:17], v[4:5]
	v_fma_f64 v[4:5], v[8:9], s[14:15], v[4:5]
	v_add_f64 v[18:19], v[18:19], v[40:41]
	v_fma_f64 v[6:7], v[6:7], -0.5, v[249:250]
	s_delay_alu instid0(VALU_DEP_4) | instskip(NEXT) | instid1(VALU_DEP_4)
	v_fma_f64 v[12:13], v[10:11], s[2:3], v[12:13]
	v_fma_f64 v[4:5], v[10:11], s[8:9], v[4:5]
	s_delay_alu instid0(VALU_DEP_4) | instskip(NEXT) | instid1(VALU_DEP_3)
	v_add_f64 v[18:19], v[18:19], v[44:45]
	v_fma_f64 v[251:252], v[0:1], s[12:13], v[12:13]
	v_add_f64 v[12:13], v[247:248], v[34:35]
	s_delay_alu instid0(VALU_DEP_4) | instskip(SKIP_2) | instid1(VALU_DEP_4)
	v_fma_f64 v[0:1], v[0:1], s[12:13], v[4:5]
	v_add_f64 v[4:5], v[38:39], v[42:43]
	v_add_f64 v[249:250], v[18:19], v[46:47]
	;; [unrolled: 1-line block ×3, first 2 shown]
	s_delay_alu instid0(VALU_DEP_3) | instskip(NEXT) | instid1(VALU_DEP_2)
	v_fma_f64 v[4:5], v[4:5], -0.5, v[247:248]
	v_add_f64 v[12:13], v[12:13], v[42:43]
	s_delay_alu instid0(VALU_DEP_2)
	v_fma_f64 v[18:19], v[10:11], s[14:15], v[4:5]
	v_fma_f64 v[4:5], v[10:11], s[16:17], v[4:5]
	;; [unrolled: 1-line block ×4, first 2 shown]
	v_add_f64 v[16:17], v[20:21], v[24:25]
	v_add_f64 v[247:248], v[12:13], v[32:33]
	v_add_f64 v[12:13], v[46:47], -v[44:45]
	v_fma_f64 v[18:19], v[8:9], s[2:3], v[18:19]
	v_fma_f64 v[4:5], v[8:9], s[8:9], v[4:5]
	;; [unrolled: 1-line block ×4, first 2 shown]
	v_add_f64 v[12:13], v[22:23], v[12:13]
	v_fma_f64 v[233:234], v[16:17], s[12:13], v[18:19]
	v_fma_f64 v[4:5], v[16:17], s[12:13], v[4:5]
	s_delay_alu instid0(VALU_DEP_3) | instskip(SKIP_2) | instid1(VALU_DEP_1)
	v_fma_f64 v[235:236], v[12:13], s[12:13], v[8:9]
	v_fma_f64 v[6:7], v[12:13], s[12:13], v[6:7]
	v_and_b32_e32 v8, 0xffff, v183
	v_lshl_add_u32 v228, v8, 4, v180
	v_add_co_u32 v8, s18, s10, v36
	s_delay_alu instid0(VALU_DEP_1)
	v_add_co_ci_u32_e64 v9, null, s11, 0, s18
	ds_store_b128 v228, v[247:250] offset:20000
	ds_store_b128 v228, v[233:236] offset:22000
	;; [unrolled: 1-line block ×5, first 2 shown]
	v_add_co_u32 v0, vcc_lo, 0x2000, v8
	v_add_co_ci_u32_e32 v1, vcc_lo, 0, v9, vcc_lo
	s_waitcnt lgkmcnt(0)
	s_barrier
	buffer_gl0_inv
	global_load_b128 v[116:119], v[0:1], off offset:1728
	ds_load_b128 v[0:3], v230 offset:10000
	ds_load_b128 v[243:246], v230 offset:2000
	s_waitcnt vmcnt(0) lgkmcnt(1)
	v_mul_f64 v[4:5], v[2:3], v[118:119]
	s_delay_alu instid0(VALU_DEP_1) | instskip(SKIP_1) | instid1(VALU_DEP_1)
	v_fma_f64 v[4:5], v[0:1], v[116:117], -v[4:5]
	v_mul_f64 v[0:1], v[0:1], v[118:119]
	v_fma_f64 v[6:7], v[2:3], v[116:117], v[0:1]
	v_add_co_u32 v0, vcc_lo, 0x26c0, v8
	v_add_co_ci_u32_e32 v1, vcc_lo, 0, v9, vcc_lo
	global_load_b128 v[148:151], v[0:1], off offset:16
	ds_load_b128 v[0:3], v230 offset:20000
	s_waitcnt vmcnt(0) lgkmcnt(0)
	v_mul_f64 v[8:9], v[2:3], v[150:151]
	s_delay_alu instid0(VALU_DEP_1) | instskip(SKIP_1) | instid1(VALU_DEP_2)
	v_fma_f64 v[8:9], v[0:1], v[148:149], -v[8:9]
	v_mul_f64 v[0:1], v[0:1], v[150:151]
	v_add_f64 v[44:45], v[4:5], v[8:9]
	s_delay_alu instid0(VALU_DEP_2) | instskip(SKIP_1) | instid1(VALU_DEP_1)
	v_fma_f64 v[10:11], v[2:3], v[148:149], v[0:1]
	v_lshlrev_b32_e32 v0, 5, v182
	v_add_co_u32 v16, s18, s10, v0
	s_delay_alu instid0(VALU_DEP_1) | instskip(NEXT) | instid1(VALU_DEP_2)
	v_add_co_ci_u32_e64 v17, null, s11, 0, s18
	v_add_co_u32 v0, vcc_lo, 0x2000, v16
	s_delay_alu instid0(VALU_DEP_2)
	v_add_co_ci_u32_e32 v1, vcc_lo, 0, v17, vcc_lo
	global_load_b128 v[160:163], v[0:1], off offset:1728
	ds_load_b128 v[0:3], v230 offset:12000
	v_add_f64 v[46:47], v[6:7], v[10:11]
	s_waitcnt vmcnt(0) lgkmcnt(0)
	v_mul_f64 v[12:13], v[2:3], v[162:163]
	s_delay_alu instid0(VALU_DEP_1) | instskip(SKIP_1) | instid1(VALU_DEP_1)
	v_fma_f64 v[12:13], v[0:1], v[160:161], -v[12:13]
	v_mul_f64 v[0:1], v[0:1], v[162:163]
	v_fma_f64 v[14:15], v[2:3], v[160:161], v[0:1]
	v_add_co_u32 v0, vcc_lo, 0x26c0, v16
	v_add_co_ci_u32_e32 v1, vcc_lo, 0, v17, vcc_lo
	global_load_b128 v[172:175], v[0:1], off offset:16
	ds_load_b128 v[0:3], v230 offset:22000
	s_waitcnt vmcnt(0) lgkmcnt(0)
	v_mul_f64 v[16:17], v[2:3], v[174:175]
	s_delay_alu instid0(VALU_DEP_1) | instskip(SKIP_1) | instid1(VALU_DEP_1)
	v_fma_f64 v[16:17], v[0:1], v[172:173], -v[16:17]
	v_mul_f64 v[0:1], v[0:1], v[174:175]
	v_fma_f64 v[18:19], v[2:3], v[172:173], v[0:1]
	v_lshlrev_b32_e32 v0, 5, v181
	s_delay_alu instid0(VALU_DEP_1) | instskip(NEXT) | instid1(VALU_DEP_1)
	v_add_co_u32 v24, s18, s10, v0
	v_add_co_ci_u32_e64 v25, null, s11, 0, s18
	s_delay_alu instid0(VALU_DEP_2) | instskip(NEXT) | instid1(VALU_DEP_2)
	v_add_co_u32 v0, vcc_lo, 0x2000, v24
	v_add_co_ci_u32_e32 v1, vcc_lo, 0, v25, vcc_lo
	global_load_b128 v[180:183], v[0:1], off offset:1728
	ds_load_b128 v[0:3], v230 offset:14000
	s_waitcnt vmcnt(0) lgkmcnt(0)
	v_mul_f64 v[20:21], v[2:3], v[182:183]
	s_delay_alu instid0(VALU_DEP_1) | instskip(SKIP_1) | instid1(VALU_DEP_1)
	v_fma_f64 v[20:21], v[0:1], v[180:181], -v[20:21]
	v_mul_f64 v[0:1], v[0:1], v[182:183]
	v_fma_f64 v[22:23], v[2:3], v[180:181], v[0:1]
	v_add_co_u32 v0, vcc_lo, 0x26c0, v24
	v_add_co_ci_u32_e32 v1, vcc_lo, 0, v25, vcc_lo
	global_load_b128 v[184:187], v[0:1], off offset:16
	ds_load_b128 v[0:3], v230 offset:24000
	s_waitcnt vmcnt(0) lgkmcnt(0)
	v_mul_f64 v[24:25], v[2:3], v[186:187]
	s_delay_alu instid0(VALU_DEP_1) | instskip(SKIP_1) | instid1(VALU_DEP_1)
	v_fma_f64 v[24:25], v[0:1], v[184:185], -v[24:25]
	v_mul_f64 v[0:1], v[0:1], v[186:187]
	v_fma_f64 v[26:27], v[2:3], v[184:185], v[0:1]
	v_add_nc_u32_e32 v0, 0x2ee0, v36
	s_delay_alu instid0(VALU_DEP_1) | instskip(NEXT) | instid1(VALU_DEP_1)
	v_add_co_u32 v32, s18, s10, v0
	v_add_co_ci_u32_e64 v33, null, s11, 0, s18
	s_delay_alu instid0(VALU_DEP_2) | instskip(NEXT) | instid1(VALU_DEP_2)
	v_add_co_u32 v0, vcc_lo, 0x2000, v32
	v_add_co_ci_u32_e32 v1, vcc_lo, 0, v33, vcc_lo
	global_load_b128 v[196:199], v[0:1], off offset:1728
	ds_load_b128 v[0:3], v230 offset:16000
	s_waitcnt vmcnt(0) lgkmcnt(0)
	v_mul_f64 v[28:29], v[2:3], v[198:199]
	s_delay_alu instid0(VALU_DEP_1) | instskip(SKIP_1) | instid1(VALU_DEP_1)
	v_fma_f64 v[28:29], v[0:1], v[196:197], -v[28:29]
	v_mul_f64 v[0:1], v[0:1], v[198:199]
	v_fma_f64 v[30:31], v[2:3], v[196:197], v[0:1]
	v_add_co_u32 v0, vcc_lo, 0x26c0, v32
	v_add_co_ci_u32_e32 v1, vcc_lo, 0, v33, vcc_lo
	global_load_b128 v[216:219], v[0:1], off offset:16
	ds_load_b128 v[0:3], v230 offset:26000
	s_waitcnt vmcnt(0) lgkmcnt(0)
	v_mul_f64 v[32:33], v[2:3], v[218:219]
	s_delay_alu instid0(VALU_DEP_1) | instskip(SKIP_1) | instid1(VALU_DEP_1)
	v_fma_f64 v[32:33], v[0:1], v[216:217], -v[32:33]
	v_mul_f64 v[0:1], v[0:1], v[218:219]
	v_fma_f64 v[34:35], v[2:3], v[216:217], v[0:1]
	v_add_nc_u32_e32 v0, 0x3e80, v36
	s_delay_alu instid0(VALU_DEP_1) | instskip(NEXT) | instid1(VALU_DEP_1)
	v_add_co_u32 v40, s10, s10, v0
	v_add_co_ci_u32_e64 v41, null, s11, 0, s10
	s_mov_b32 s10, 0xe8584caa
	s_delay_alu instid0(VALU_DEP_2) | instskip(NEXT) | instid1(VALU_DEP_2)
	v_add_co_u32 v0, vcc_lo, 0x2000, v40
	v_add_co_ci_u32_e32 v1, vcc_lo, 0, v41, vcc_lo
	s_mov_b32 s11, 0x3febb67a
	s_mov_b32 s18, s10
	global_load_b128 v[220:223], v[0:1], off offset:1728
	ds_load_b128 v[0:3], v230 offset:18000
	s_waitcnt vmcnt(0) lgkmcnt(0)
	v_mul_f64 v[36:37], v[2:3], v[222:223]
	s_delay_alu instid0(VALU_DEP_1) | instskip(SKIP_1) | instid1(VALU_DEP_1)
	v_fma_f64 v[36:37], v[0:1], v[220:221], -v[36:37]
	v_mul_f64 v[0:1], v[0:1], v[222:223]
	v_fma_f64 v[38:39], v[2:3], v[220:221], v[0:1]
	v_add_co_u32 v0, vcc_lo, 0x26c0, v40
	v_add_co_ci_u32_e32 v1, vcc_lo, 0, v41, vcc_lo
	global_load_b128 v[224:227], v[0:1], off offset:16
	ds_load_b128 v[0:3], v230 offset:28000
	s_waitcnt vmcnt(0) lgkmcnt(0)
	v_mul_f64 v[40:41], v[2:3], v[226:227]
	s_delay_alu instid0(VALU_DEP_1) | instskip(SKIP_1) | instid1(VALU_DEP_1)
	v_fma_f64 v[40:41], v[0:1], v[224:225], -v[40:41]
	v_mul_f64 v[0:1], v[0:1], v[226:227]
	v_fma_f64 v[42:43], v[2:3], v[224:225], v[0:1]
	ds_load_b128 v[0:3], v230
	s_waitcnt lgkmcnt(0)
	v_fma_f64 v[44:45], v[44:45], -0.5, v[0:1]
	v_add_f64 v[0:1], v[0:1], v[4:5]
	v_fma_f64 v[46:47], v[46:47], -0.5, v[2:3]
	v_add_f64 v[2:3], v[2:3], v[6:7]
	v_add_f64 v[6:7], v[6:7], -v[10:11]
	v_add_f64 v[48:49], v[38:39], -v[42:43]
	v_add_f64 v[0:1], v[0:1], v[8:9]
	v_add_f64 v[8:9], v[4:5], -v[8:9]
	v_add_f64 v[2:3], v[2:3], v[10:11]
	v_add_f64 v[10:11], v[14:15], v[18:19]
	v_fma_f64 v[4:5], v[6:7], s[10:11], v[44:45]
	v_fma_f64 v[233:234], v[6:7], s[18:19], v[44:45]
	v_add_f64 v[44:45], v[245:246], v[14:15]
	v_add_f64 v[14:15], v[14:15], -v[18:19]
	v_fma_f64 v[6:7], v[8:9], s[18:19], v[46:47]
	v_fma_f64 v[235:236], v[8:9], s[10:11], v[46:47]
	v_add_f64 v[8:9], v[12:13], v[16:17]
	v_fma_f64 v[10:11], v[10:11], -0.5, v[245:246]
	v_add_f64 v[46:47], v[243:244], v[12:13]
	v_add_f64 v[12:13], v[12:13], -v[16:17]
	v_add_f64 v[245:246], v[44:45], v[18:19]
	v_fma_f64 v[8:9], v[8:9], -0.5, v[243:244]
	s_delay_alu instid0(VALU_DEP_4) | instskip(NEXT) | instid1(VALU_DEP_4)
	v_add_f64 v[243:244], v[46:47], v[16:17]
	v_fma_f64 v[249:250], v[12:13], s[18:19], v[10:11]
	v_fma_f64 v[253:254], v[12:13], s[10:11], v[10:11]
	v_add_f64 v[12:13], v[20:21], v[24:25]
	v_add_f64 v[16:17], v[22:23], -v[26:27]
	v_add_f64 v[46:47], v[38:39], v[42:43]
	v_fma_f64 v[247:248], v[14:15], s[10:11], v[8:9]
	v_fma_f64 v[251:252], v[14:15], s[18:19], v[8:9]
	ds_load_b128 v[8:11], v230 offset:4000
	s_waitcnt lgkmcnt(0)
	v_fma_f64 v[14:15], v[12:13], -0.5, v[8:9]
	v_add_f64 v[12:13], v[22:23], v[26:27]
	v_add_f64 v[8:9], v[8:9], v[20:21]
	v_add_f64 v[20:21], v[20:21], -v[24:25]
	s_delay_alu instid0(VALU_DEP_3) | instskip(SKIP_1) | instid1(VALU_DEP_4)
	v_fma_f64 v[18:19], v[12:13], -0.5, v[10:11]
	v_add_f64 v[10:11], v[10:11], v[22:23]
	v_add_f64 v[8:9], v[8:9], v[24:25]
	;; [unrolled: 1-line block ×3, first 2 shown]
	v_fma_f64 v[12:13], v[16:17], s[10:11], v[14:15]
	v_fma_f64 v[16:17], v[16:17], s[18:19], v[14:15]
	;; [unrolled: 1-line block ×4, first 2 shown]
	ds_load_b128 v[20:23], v230 offset:6000
	v_add_f64 v[10:11], v[10:11], v[26:27]
	s_waitcnt lgkmcnt(0)
	v_fma_f64 v[26:27], v[24:25], -0.5, v[20:21]
	v_add_f64 v[24:25], v[30:31], v[34:35]
	v_add_f64 v[20:21], v[20:21], v[28:29]
	s_delay_alu instid0(VALU_DEP_2) | instskip(SKIP_2) | instid1(VALU_DEP_4)
	v_fma_f64 v[44:45], v[24:25], -0.5, v[22:23]
	v_add_f64 v[22:23], v[22:23], v[30:31]
	v_add_f64 v[30:31], v[30:31], -v[34:35]
	v_add_f64 v[20:21], v[20:21], v[32:33]
	v_add_f64 v[32:33], v[28:29], -v[32:33]
	s_delay_alu instid0(VALU_DEP_4) | instskip(NEXT) | instid1(VALU_DEP_4)
	v_add_f64 v[22:23], v[22:23], v[34:35]
	v_fma_f64 v[24:25], v[30:31], s[10:11], v[26:27]
	v_fma_f64 v[28:29], v[30:31], s[18:19], v[26:27]
	s_delay_alu instid0(VALU_DEP_4)
	v_fma_f64 v[26:27], v[32:33], s[18:19], v[44:45]
	v_fma_f64 v[30:31], v[32:33], s[10:11], v[44:45]
	ds_load_b128 v[32:35], v230 offset:8000
	v_add_f64 v[44:45], v[36:37], v[40:41]
	s_waitcnt lgkmcnt(0)
	v_fma_f64 v[46:47], v[46:47], -0.5, v[34:35]
	v_add_f64 v[34:35], v[34:35], v[38:39]
	s_delay_alu instid0(VALU_DEP_3) | instskip(SKIP_1) | instid1(VALU_DEP_3)
	v_fma_f64 v[44:45], v[44:45], -0.5, v[32:33]
	v_add_f64 v[32:33], v[32:33], v[36:37]
	v_add_f64 v[34:35], v[34:35], v[42:43]
	v_add_f64 v[42:43], v[36:37], -v[40:41]
	s_delay_alu instid0(VALU_DEP_4) | instskip(NEXT) | instid1(VALU_DEP_4)
	v_fma_f64 v[36:37], v[48:49], s[10:11], v[44:45]
	v_add_f64 v[32:33], v[32:33], v[40:41]
	v_fma_f64 v[40:41], v[48:49], s[18:19], v[44:45]
	s_delay_alu instid0(VALU_DEP_4)
	v_fma_f64 v[38:39], v[42:43], s[18:19], v[46:47]
	v_fma_f64 v[42:43], v[42:43], s[10:11], v[46:47]
	ds_store_b128 v230, v[0:3]
	ds_store_b128 v230, v[243:246] offset:2000
	ds_store_b128 v230, v[8:11] offset:4000
	;; [unrolled: 1-line block ×14, first 2 shown]
	v_add_co_u32 v0, vcc_lo, 0x7000, v231
	v_add_co_ci_u32_e32 v1, vcc_lo, 0, v232, vcc_lo
	s_waitcnt lgkmcnt(0)
	s_barrier
	buffer_gl0_inv
	global_load_b128 v[0:3], v[0:1], off offset:1328
	ds_load_b128 v[4:7], v230
	ds_load_b128 v[34:37], v230 offset:2000
	ds_load_b128 v[10:13], v230 offset:6000
	;; [unrolled: 1-line block ×9, first 2 shown]
	s_waitcnt vmcnt(0) lgkmcnt(9)
	v_mul_f64 v[8:9], v[6:7], v[2:3]
	v_mul_f64 v[2:3], v[4:5], v[2:3]
	s_delay_alu instid0(VALU_DEP_2) | instskip(NEXT) | instid1(VALU_DEP_2)
	v_fma_f64 v[54:55], v[4:5], v[0:1], -v[8:9]
	v_fma_f64 v[56:57], v[6:7], v[0:1], v[2:3]
	v_add_co_u32 v0, vcc_lo, 0x8000, v231
	v_add_co_ci_u32_e32 v1, vcc_lo, 0, v232, vcc_lo
	global_load_b128 v[6:9], v[0:1], off offset:3232
	s_waitcnt vmcnt(0) lgkmcnt(7)
	v_mul_f64 v[0:1], v[12:13], v[8:9]
	v_mul_f64 v[2:3], v[10:11], v[8:9]
	s_delay_alu instid0(VALU_DEP_2) | instskip(SKIP_2) | instid1(VALU_DEP_4)
	v_fma_f64 v[50:51], v[10:11], v[6:7], -v[0:1]
	v_add_co_u32 v0, vcc_lo, 0xa000, v231
	v_add_co_ci_u32_e32 v1, vcc_lo, 0, v232, vcc_lo
	v_fma_f64 v[52:53], v[12:13], v[6:7], v[2:3]
	s_clause 0x1
	global_load_b128 v[12:15], v[0:1], off offset:1040
	global_load_b128 v[233:236], v[0:1], off offset:3040
	s_waitcnt vmcnt(1) lgkmcnt(5)
	v_mul_f64 v[4:5], v[16:17], v[14:15]
	v_mul_f64 v[2:3], v[18:19], v[14:15]
	s_delay_alu instid0(VALU_DEP_2) | instskip(SKIP_2) | instid1(VALU_DEP_4)
	v_fma_f64 v[48:49], v[18:19], v[12:13], v[4:5]
	v_add_co_u32 v4, vcc_lo, 0xb000, v231
	v_add_co_ci_u32_e32 v5, vcc_lo, 0, v232, vcc_lo
	v_fma_f64 v[46:47], v[16:17], v[12:13], -v[2:3]
	global_load_b128 v[18:21], v[4:5], off offset:2944
	s_waitcnt vmcnt(0) lgkmcnt(4)
	v_mul_f64 v[2:3], v[24:25], v[20:21]
	v_mul_f64 v[6:7], v[22:23], v[20:21]
	s_delay_alu instid0(VALU_DEP_2) | instskip(SKIP_2) | instid1(VALU_DEP_4)
	v_fma_f64 v[20:21], v[22:23], v[18:19], -v[2:3]
	v_add_co_u32 v2, vcc_lo, 0xd000, v231
	v_add_co_ci_u32_e32 v3, vcc_lo, 0, v232, vcc_lo
	v_fma_f64 v[22:23], v[24:25], v[18:19], v[6:7]
	global_load_b128 v[24:27], v[2:3], off offset:752
	s_waitcnt vmcnt(0) lgkmcnt(3)
	v_mul_f64 v[6:7], v[30:31], v[26:27]
	v_mul_f64 v[8:9], v[28:29], v[26:27]
	s_delay_alu instid0(VALU_DEP_2) | instskip(SKIP_2) | instid1(VALU_DEP_4)
	v_fma_f64 v[26:27], v[28:29], v[24:25], -v[6:7]
	v_add_co_u32 v6, vcc_lo, 0x7530, v231
	v_add_co_ci_u32_e32 v7, vcc_lo, 0, v232, vcc_lo
	v_fma_f64 v[28:29], v[30:31], v[24:25], v[8:9]
	global_load_b128 v[30:33], v[6:7], off offset:2000
	s_waitcnt vmcnt(0)
	v_mul_f64 v[8:9], v[36:37], v[32:33]
	v_mul_f64 v[10:11], v[34:35], v[32:33]
	s_delay_alu instid0(VALU_DEP_2) | instskip(SKIP_2) | instid1(VALU_DEP_4)
	v_fma_f64 v[32:33], v[34:35], v[30:31], -v[8:9]
	v_add_co_u32 v8, vcc_lo, 0x9000, v231
	v_add_co_ci_u32_e32 v9, vcc_lo, 0, v232, vcc_lo
	v_fma_f64 v[34:35], v[36:37], v[30:31], v[10:11]
	global_load_b128 v[36:39], v[8:9], off offset:1136
	s_waitcnt vmcnt(0)
	v_mul_f64 v[10:11], v[42:43], v[38:39]
	v_mul_f64 v[12:13], v[40:41], v[38:39]
	s_delay_alu instid0(VALU_DEP_2) | instskip(NEXT) | instid1(VALU_DEP_2)
	v_fma_f64 v[38:39], v[40:41], v[36:37], -v[10:11]
	v_fma_f64 v[40:41], v[42:43], v[36:37], v[12:13]
	ds_load_b128 v[42:45], v230 offset:4000
	s_waitcnt lgkmcnt(2)
	v_mul_f64 v[10:11], v[243:244], v[235:236]
	v_mul_f64 v[0:1], v[245:246], v[235:236]
	s_delay_alu instid0(VALU_DEP_2) | instskip(SKIP_2) | instid1(VALU_DEP_4)
	v_fma_f64 v[245:246], v[245:246], v[233:234], v[10:11]
	v_add_co_u32 v10, vcc_lo, 0xc000, v231
	v_add_co_ci_u32_e32 v11, vcc_lo, 0, v232, vcc_lo
	v_fma_f64 v[243:244], v[243:244], v[233:234], -v[0:1]
	global_load_b128 v[233:236], v[10:11], off offset:848
	s_waitcnt vmcnt(0)
	v_mul_f64 v[0:1], v[249:250], v[235:236]
	v_mul_f64 v[12:13], v[247:248], v[235:236]
	s_delay_alu instid0(VALU_DEP_2) | instskip(NEXT) | instid1(VALU_DEP_2)
	v_fma_f64 v[247:248], v[247:248], v[233:234], -v[0:1]
	v_fma_f64 v[249:250], v[249:250], v[233:234], v[12:13]
	global_load_b128 v[233:236], v[2:3], off offset:2752
	s_waitcnt vmcnt(0) lgkmcnt(1)
	v_mul_f64 v[0:1], v[253:254], v[235:236]
	v_mul_f64 v[2:3], v[251:252], v[235:236]
	s_delay_alu instid0(VALU_DEP_2) | instskip(NEXT) | instid1(VALU_DEP_2)
	v_fma_f64 v[251:252], v[251:252], v[233:234], -v[0:1]
	v_fma_f64 v[253:254], v[253:254], v[233:234], v[2:3]
	global_load_b128 v[233:236], v[6:7], off offset:4000
	s_waitcnt vmcnt(0) lgkmcnt(0)
	v_mul_f64 v[0:1], v[44:45], v[235:236]
	v_mul_f64 v[2:3], v[42:43], v[235:236]
	s_delay_alu instid0(VALU_DEP_2) | instskip(NEXT) | instid1(VALU_DEP_2)
	v_fma_f64 v[42:43], v[42:43], v[233:234], -v[0:1]
	v_fma_f64 v[44:45], v[44:45], v[233:234], v[2:3]
	global_load_b128 v[233:236], v[8:9], off offset:3136
	ds_load_b128 v[0:3], v230 offset:10000
	s_waitcnt vmcnt(0) lgkmcnt(0)
	v_mul_f64 v[6:7], v[2:3], v[235:236]
	v_mul_f64 v[8:9], v[0:1], v[235:236]
	s_delay_alu instid0(VALU_DEP_2)
	v_fma_f64 v[12:13], v[0:1], v[233:234], -v[6:7]
	global_load_b128 v[4:7], v[4:5], off offset:944
	v_fma_f64 v[14:15], v[2:3], v[233:234], v[8:9]
	ds_load_b128 v[233:236], v230 offset:16000
	s_waitcnt vmcnt(0) lgkmcnt(0)
	v_mul_f64 v[0:1], v[235:236], v[6:7]
	v_mul_f64 v[2:3], v[233:234], v[6:7]
	s_delay_alu instid0(VALU_DEP_2) | instskip(NEXT) | instid1(VALU_DEP_2)
	v_fma_f64 v[233:234], v[233:234], v[4:5], -v[0:1]
	v_fma_f64 v[235:236], v[235:236], v[4:5], v[2:3]
	global_load_b128 v[4:7], v[10:11], off offset:2848
	ds_load_b128 v[0:3], v230 offset:22000
	s_waitcnt vmcnt(0) lgkmcnt(0)
	v_mul_f64 v[8:9], v[2:3], v[6:7]
	v_mul_f64 v[6:7], v[0:1], v[6:7]
	s_delay_alu instid0(VALU_DEP_2) | instskip(SKIP_2) | instid1(VALU_DEP_4)
	v_fma_f64 v[8:9], v[0:1], v[4:5], -v[8:9]
	v_add_co_u32 v0, vcc_lo, 0xe000, v231
	v_add_co_ci_u32_e32 v1, vcc_lo, 0, v232, vcc_lo
	v_fma_f64 v[10:11], v[2:3], v[4:5], v[6:7]
	global_load_b128 v[4:7], v[0:1], off offset:656
	ds_load_b128 v[0:3], v230 offset:28000
	s_waitcnt vmcnt(0) lgkmcnt(0)
	v_mul_f64 v[16:17], v[2:3], v[6:7]
	v_mul_f64 v[6:7], v[0:1], v[6:7]
	s_delay_alu instid0(VALU_DEP_2) | instskip(NEXT) | instid1(VALU_DEP_2)
	v_fma_f64 v[0:1], v[0:1], v[4:5], -v[16:17]
	v_fma_f64 v[2:3], v[2:3], v[4:5], v[6:7]
	ds_store_b128 v230, v[54:57]
	ds_store_b128 v230, v[32:35] offset:2000
	ds_store_b128 v230, v[46:49] offset:12000
	;; [unrolled: 1-line block ×14, first 2 shown]
	s_waitcnt lgkmcnt(0)
	s_barrier
	buffer_gl0_inv
	ds_load_b128 v[0:3], v230 offset:6000
	ds_load_b128 v[4:7], v230
	ds_load_b128 v[8:11], v230 offset:12000
	s_waitcnt lgkmcnt(1)
	v_add_f64 v[12:13], v[4:5], v[0:1]
	s_waitcnt lgkmcnt(0)
	v_add_f64 v[108:109], v[0:1], -v[8:9]
	v_add_f64 v[100:101], v[8:9], -v[0:1]
	v_add_f64 v[104:105], v[2:3], -v[10:11]
	v_add_f64 v[80:81], v[10:11], -v[2:3]
	v_add_f64 v[16:17], v[12:13], v[8:9]
	v_add_f64 v[12:13], v[6:7], v[2:3]
	s_delay_alu instid0(VALU_DEP_1)
	v_add_f64 v[18:19], v[12:13], v[10:11]
	ds_load_b128 v[12:15], v230 offset:18000
	s_waitcnt lgkmcnt(0)
	v_add_f64 v[96:97], v[8:9], v[12:13]
	v_add_f64 v[34:35], v[10:11], -v[14:15]
	v_add_f64 v[92:93], v[10:11], v[14:15]
	v_add_f64 v[42:43], v[8:9], -v[12:13]
	ds_load_b128 v[8:11], v230 offset:24000
	s_waitcnt lgkmcnt(0)
	v_add_f64 v[48:49], v[2:3], -v[10:11]
	v_add_f64 v[32:33], v[0:1], v[8:9]
	v_add_f64 v[52:53], v[0:1], -v[8:9]
	v_add_f64 v[72:73], v[2:3], v[10:11]
	v_add_f64 v[0:1], v[16:17], v[12:13]
	v_add_f64 v[2:3], v[18:19], v[14:15]
	v_add_f64 v[88:89], v[8:9], -v[12:13]
	v_add_f64 v[231:232], v[12:13], -v[8:9]
	;; [unrolled: 1-line block ×4, first 2 shown]
	v_add_f64 v[249:250], v[0:1], v[8:9]
	v_add_f64 v[251:252], v[2:3], v[10:11]
	ds_load_b128 v[8:11], v230 offset:2000
	ds_load_b128 v[12:15], v230 offset:8000
	;; [unrolled: 1-line block ×3, first 2 shown]
	s_waitcnt lgkmcnt(1)
	v_add_f64 v[20:21], v[8:9], v[12:13]
	s_waitcnt lgkmcnt(0)
	v_add_f64 v[247:248], v[12:13], -v[16:17]
	v_add_f64 v[76:77], v[16:17], -v[12:13]
	;; [unrolled: 1-line block ×4, first 2 shown]
	v_add_f64 v[24:25], v[20:21], v[16:17]
	v_add_f64 v[20:21], v[10:11], v[14:15]
	s_delay_alu instid0(VALU_DEP_1)
	v_add_f64 v[26:27], v[20:21], v[18:19]
	ds_load_b128 v[20:23], v230 offset:20000
	s_waitcnt lgkmcnt(0)
	v_add_f64 v[243:244], v[16:17], v[20:21]
	v_add_f64 v[245:246], v[18:19], -v[22:23]
	v_add_f64 v[68:69], v[18:19], v[22:23]
	v_add_f64 v[253:254], v[16:17], -v[20:21]
	ds_load_b128 v[16:19], v230 offset:26000
	s_waitcnt lgkmcnt(0)
	v_add_f64 v[62:63], v[14:15], -v[18:19]
	v_add_f64 v[56:57], v[12:13], v[16:17]
	v_add_f64 v[66:67], v[12:13], -v[16:17]
	v_add_f64 v[58:59], v[14:15], v[18:19]
	v_add_f64 v[12:13], v[24:25], v[20:21]
	;; [unrolled: 1-line block ×3, first 2 shown]
	v_add_f64 v[70:71], v[16:17], -v[20:21]
	v_add_f64 v[2:3], v[20:21], -v[16:17]
	;; [unrolled: 1-line block ×4, first 2 shown]
	v_add_f64 v[36:37], v[12:13], v[16:17]
	v_add_f64 v[38:39], v[14:15], v[18:19]
	ds_load_b128 v[16:19], v230 offset:4000
	ds_load_b128 v[20:23], v230 offset:10000
	;; [unrolled: 1-line block ×3, first 2 shown]
	s_waitcnt lgkmcnt(1)
	v_add_f64 v[28:29], v[16:17], v[20:21]
	s_waitcnt lgkmcnt(0)
	v_add_f64 v[64:65], v[20:21], -v[24:25]
	v_add_f64 v[54:55], v[24:25], -v[20:21]
	;; [unrolled: 1-line block ×4, first 2 shown]
	v_add_f64 v[78:79], v[28:29], v[24:25]
	v_add_f64 v[28:29], v[18:19], v[22:23]
	s_delay_alu instid0(VALU_DEP_1)
	v_add_f64 v[0:1], v[28:29], v[26:27]
	ds_load_b128 v[28:31], v230 offset:22000
	s_waitcnt lgkmcnt(0)
	v_add_f64 v[82:83], v[24:25], v[28:29]
	v_add_f64 v[14:15], v[26:27], -v[30:31]
	v_add_f64 v[90:91], v[26:27], v[30:31]
	v_add_f64 v[12:13], v[24:25], -v[28:29]
	ds_load_b128 v[24:27], v230 offset:28000
	s_waitcnt lgkmcnt(0)
	s_barrier
	buffer_gl0_inv
	v_add_f64 v[0:1], v[0:1], v[30:31]
	v_add_f64 v[98:99], v[22:23], -v[26:27]
	v_add_f64 v[40:41], v[20:21], v[24:25]
	v_add_f64 v[102:103], v[20:21], -v[24:25]
	v_add_f64 v[44:45], v[22:23], v[26:27]
	v_add_f64 v[20:21], v[78:79], v[28:29]
	v_add_f64 v[78:79], v[24:25], -v[28:29]
	v_add_f64 v[106:107], v[28:29], -v[24:25]
	v_fma_f64 v[28:29], v[96:97], -0.5, v[4:5]
	v_add_f64 v[50:51], v[26:27], -v[30:31]
	v_add_f64 v[110:111], v[30:31], -v[26:27]
	v_fma_f64 v[30:31], v[92:93], -0.5, v[6:7]
	v_add_f64 v[22:23], v[0:1], v[26:27]
	v_fma_f64 v[0:1], v[32:33], -0.5, v[4:5]
	v_add_f64 v[26:27], v[100:101], v[231:232]
	v_add_f64 v[32:33], v[80:81], v[235:236]
	;; [unrolled: 1-line block ×3, first 2 shown]
	v_fma_f64 v[24:25], v[72:73], -0.5, v[6:7]
	v_fma_f64 v[4:5], v[34:35], s[14:15], v[0:1]
	v_fma_f64 v[0:1], v[34:35], s[16:17], v[0:1]
	s_delay_alu instid0(VALU_DEP_3) | instskip(SKIP_1) | instid1(VALU_DEP_4)
	v_fma_f64 v[6:7], v[42:43], s[16:17], v[24:25]
	v_fma_f64 v[24:25], v[42:43], s[14:15], v[24:25]
	;; [unrolled: 1-line block ×3, first 2 shown]
	s_delay_alu instid0(VALU_DEP_4) | instskip(NEXT) | instid1(VALU_DEP_4)
	v_fma_f64 v[0:1], v[48:49], s[2:3], v[0:1]
	v_fma_f64 v[6:7], v[52:53], s[2:3], v[6:7]
	s_delay_alu instid0(VALU_DEP_4) | instskip(NEXT) | instid1(VALU_DEP_4)
	v_fma_f64 v[72:73], v[52:53], s[8:9], v[24:25]
	v_fma_f64 v[4:5], v[26:27], s[12:13], v[4:5]
	s_delay_alu instid0(VALU_DEP_4)
	v_fma_f64 v[24:25], v[26:27], s[12:13], v[0:1]
	v_fma_f64 v[0:1], v[48:49], s[16:17], v[28:29]
	;; [unrolled: 1-line block ×3, first 2 shown]
	v_add_f64 v[48:49], v[108:109], v[88:89]
	v_fma_f64 v[6:7], v[32:33], s[12:13], v[6:7]
	v_fma_f64 v[26:27], v[32:33], s[12:13], v[72:73]
	v_fma_f64 v[32:33], v[52:53], s[14:15], v[30:31]
	v_fma_f64 v[30:31], v[52:53], s[16:17], v[30:31]
	v_add_f64 v[52:53], v[104:105], v[233:234]
	v_fma_f64 v[0:1], v[34:35], s[8:9], v[0:1]
	v_fma_f64 v[34:35], v[34:35], s[2:3], v[28:29]
	;; [unrolled: 1-line block ×4, first 2 shown]
	s_delay_alu instid0(VALU_DEP_4)
	v_fma_f64 v[28:29], v[48:49], s[12:13], v[0:1]
	scratch_load_b32 v0, off, off offset:452 ; 4-byte Folded Reload
	v_fma_f64 v[30:31], v[52:53], s[12:13], v[32:33]
	v_fma_f64 v[32:33], v[48:49], s[12:13], v[34:35]
	;; [unrolled: 1-line block ×3, first 2 shown]
	s_waitcnt vmcnt(0)
	ds_store_b128 v0, v[249:252]
	ds_store_b128 v0, v[28:31] offset:16
	ds_store_b128 v0, v[4:7] offset:32
	;; [unrolled: 1-line block ×4, first 2 shown]
	v_fma_f64 v[4:5], v[56:57], -0.5, v[8:9]
	v_fma_f64 v[6:7], v[58:59], -0.5, v[10:11]
	;; [unrolled: 1-line block ×4, first 2 shown]
	v_add_f64 v[10:11], v[76:77], v[2:3]
	v_add_f64 v[26:27], v[60:61], v[86:87]
	;; [unrolled: 1-line block ×4, first 2 shown]
	v_fma_f64 v[0:1], v[245:246], s[14:15], v[4:5]
	v_fma_f64 v[4:5], v[245:246], s[16:17], v[4:5]
	;; [unrolled: 1-line block ×4, first 2 shown]
	s_delay_alu instid0(VALU_DEP_4) | instskip(NEXT) | instid1(VALU_DEP_4)
	v_fma_f64 v[0:1], v[62:63], s[8:9], v[0:1]
	v_fma_f64 v[4:5], v[62:63], s[2:3], v[4:5]
	s_delay_alu instid0(VALU_DEP_4) | instskip(NEXT) | instid1(VALU_DEP_4)
	v_fma_f64 v[2:3], v[66:67], s[2:3], v[2:3]
	v_fma_f64 v[6:7], v[66:67], s[8:9], v[6:7]
	;; [unrolled: 3-line block ×3, first 2 shown]
	v_fma_f64 v[10:11], v[62:63], s[16:17], v[8:9]
	v_fma_f64 v[8:9], v[62:63], s[14:15], v[8:9]
	;; [unrolled: 1-line block ×8, first 2 shown]
	s_delay_alu instid0(VALU_DEP_4) | instskip(NEXT) | instid1(VALU_DEP_4)
	v_fma_f64 v[26:27], v[253:254], s[2:3], v[26:27]
	v_fma_f64 v[34:35], v[253:254], s[8:9], v[24:25]
	s_delay_alu instid0(VALU_DEP_4) | instskip(NEXT) | instid1(VALU_DEP_4)
	v_fma_f64 v[8:9], v[28:29], s[12:13], v[10:11]
	v_fma_f64 v[24:25], v[28:29], s[12:13], v[32:33]
	scratch_load_b32 v28, off, off offset:448 ; 4-byte Folded Reload
	v_fma_f64 v[10:11], v[30:31], s[12:13], v[26:27]
	v_fma_f64 v[26:27], v[30:31], s[12:13], v[34:35]
	s_waitcnt vmcnt(0)
	ds_store_b128 v28, v[36:39]
	ds_store_b128 v28, v[8:11] offset:16
	ds_store_b128 v28, v[0:3] offset:32
	;; [unrolled: 1-line block ×4, first 2 shown]
	v_fma_f64 v[4:5], v[40:41], -0.5, v[16:17]
	v_fma_f64 v[8:9], v[82:83], -0.5, v[16:17]
	v_add_f64 v[16:17], v[54:55], v[106:107]
	v_add_f64 v[24:25], v[64:65], v[78:79]
	v_fma_f64 v[6:7], v[44:45], -0.5, v[18:19]
	v_fma_f64 v[10:11], v[90:91], -0.5, v[18:19]
	v_add_f64 v[18:19], v[46:47], v[110:111]
	v_add_f64 v[26:27], v[94:95], v[50:51]
	v_fma_f64 v[0:1], v[14:15], s[14:15], v[4:5]
	v_fma_f64 v[4:5], v[14:15], s[16:17], v[4:5]
	;; [unrolled: 1-line block ×4, first 2 shown]
	s_delay_alu instid0(VALU_DEP_4) | instskip(NEXT) | instid1(VALU_DEP_4)
	v_fma_f64 v[0:1], v[98:99], s[8:9], v[0:1]
	v_fma_f64 v[4:5], v[98:99], s[2:3], v[4:5]
	s_delay_alu instid0(VALU_DEP_4) | instskip(NEXT) | instid1(VALU_DEP_4)
	v_fma_f64 v[2:3], v[102:103], s[2:3], v[2:3]
	v_fma_f64 v[6:7], v[102:103], s[8:9], v[6:7]
	;; [unrolled: 3-line block ×3, first 2 shown]
	v_fma_f64 v[16:17], v[98:99], s[16:17], v[8:9]
	v_fma_f64 v[8:9], v[98:99], s[14:15], v[8:9]
	;; [unrolled: 1-line block ×8, first 2 shown]
	s_delay_alu instid0(VALU_DEP_4) | instskip(NEXT) | instid1(VALU_DEP_4)
	v_fma_f64 v[18:19], v[12:13], s[2:3], v[18:19]
	v_fma_f64 v[28:29], v[12:13], s[8:9], v[10:11]
	s_delay_alu instid0(VALU_DEP_4)
	v_fma_f64 v[8:9], v[24:25], s[12:13], v[16:17]
	scratch_load_b32 v16, off, off offset:444 ; 4-byte Folded Reload
	v_fma_f64 v[12:13], v[24:25], s[12:13], v[14:15]
	v_fma_f64 v[10:11], v[26:27], s[12:13], v[18:19]
	v_fma_f64 v[14:15], v[26:27], s[12:13], v[28:29]
	s_waitcnt vmcnt(0)
	ds_store_b128 v16, v[20:23]
	ds_store_b128 v16, v[8:11] offset:16
	ds_store_b128 v16, v[0:3] offset:32
	;; [unrolled: 1-line block ×4, first 2 shown]
	s_waitcnt lgkmcnt(0)
	s_barrier
	buffer_gl0_inv
	scratch_load_b128 v[6:9], off, off offset:300 ; 16-byte Folded Reload
	ds_load_b128 v[0:3], v230 offset:6000
	s_waitcnt vmcnt(0) lgkmcnt(0)
	v_mul_f64 v[4:5], v[8:9], v[2:3]
	s_delay_alu instid0(VALU_DEP_1) | instskip(SKIP_1) | instid1(VALU_DEP_1)
	v_fma_f64 v[12:13], v[6:7], v[0:1], v[4:5]
	v_mul_f64 v[0:1], v[8:9], v[0:1]
	v_fma_f64 v[14:15], v[6:7], v[2:3], -v[0:1]
	scratch_load_b128 v[6:9], off, off offset:284 ; 16-byte Folded Reload
	ds_load_b128 v[0:3], v230 offset:12000
	s_waitcnt vmcnt(0) lgkmcnt(0)
	v_mul_f64 v[4:5], v[8:9], v[2:3]
	s_delay_alu instid0(VALU_DEP_1) | instskip(SKIP_1) | instid1(VALU_DEP_1)
	v_fma_f64 v[16:17], v[6:7], v[0:1], v[4:5]
	v_mul_f64 v[0:1], v[8:9], v[0:1]
	v_fma_f64 v[18:19], v[6:7], v[2:3], -v[0:1]
	scratch_load_b128 v[6:9], off, off offset:268 ; 16-byte Folded Reload
	ds_load_b128 v[0:3], v230 offset:18000
	s_waitcnt vmcnt(0) lgkmcnt(0)
	v_mul_f64 v[4:5], v[8:9], v[2:3]
	s_delay_alu instid0(VALU_DEP_1) | instskip(SKIP_1) | instid1(VALU_DEP_2)
	v_fma_f64 v[20:21], v[6:7], v[0:1], v[4:5]
	v_mul_f64 v[0:1], v[8:9], v[0:1]
	v_add_f64 v[52:53], v[16:17], -v[20:21]
	s_delay_alu instid0(VALU_DEP_2)
	v_fma_f64 v[22:23], v[6:7], v[2:3], -v[0:1]
	scratch_load_b128 v[6:9], off, off offset:252 ; 16-byte Folded Reload
	ds_load_b128 v[0:3], v230 offset:24000
	v_add_f64 v[48:49], v[18:19], -v[22:23]
	s_waitcnt vmcnt(0) lgkmcnt(0)
	v_mul_f64 v[4:5], v[8:9], v[2:3]
	s_delay_alu instid0(VALU_DEP_1) | instskip(SKIP_1) | instid1(VALU_DEP_2)
	v_fma_f64 v[24:25], v[6:7], v[0:1], v[4:5]
	v_mul_f64 v[0:1], v[8:9], v[0:1]
	v_add_f64 v[54:55], v[12:13], -v[24:25]
	s_delay_alu instid0(VALU_DEP_2)
	v_fma_f64 v[26:27], v[6:7], v[2:3], -v[0:1]
	scratch_load_b128 v[6:9], off, off offset:316 ; 16-byte Folded Reload
	ds_load_b128 v[0:3], v230 offset:8000
	v_add_f64 v[50:51], v[14:15], -v[26:27]
	s_waitcnt vmcnt(0) lgkmcnt(0)
	v_mul_f64 v[4:5], v[8:9], v[2:3]
	s_delay_alu instid0(VALU_DEP_1) | instskip(SKIP_1) | instid1(VALU_DEP_1)
	v_fma_f64 v[28:29], v[6:7], v[0:1], v[4:5]
	v_mul_f64 v[0:1], v[8:9], v[0:1]
	v_fma_f64 v[30:31], v[6:7], v[2:3], -v[0:1]
	scratch_load_b128 v[6:9], off, off offset:348 ; 16-byte Folded Reload
	ds_load_b128 v[0:3], v230 offset:14000
	s_waitcnt vmcnt(0) lgkmcnt(0)
	v_mul_f64 v[4:5], v[8:9], v[2:3]
	s_delay_alu instid0(VALU_DEP_1) | instskip(SKIP_1) | instid1(VALU_DEP_1)
	v_fma_f64 v[32:33], v[6:7], v[0:1], v[4:5]
	v_mul_f64 v[0:1], v[8:9], v[0:1]
	v_fma_f64 v[34:35], v[6:7], v[2:3], -v[0:1]
	scratch_load_b128 v[6:9], off, off offset:332 ; 16-byte Folded Reload
	ds_load_b128 v[0:3], v230 offset:20000
	;; [unrolled: 8-line block ×7, first 2 shown]
	s_waitcnt vmcnt(0) lgkmcnt(0)
	v_mul_f64 v[4:5], v[8:9], v[2:3]
	s_delay_alu instid0(VALU_DEP_1) | instskip(SKIP_2) | instid1(VALU_DEP_2)
	v_fma_f64 v[72:73], v[6:7], v[0:1], v[4:5]
	v_mul_f64 v[0:1], v[8:9], v[0:1]
	v_add_f64 v[4:5], v[12:13], v[24:25]
	v_fma_f64 v[74:75], v[6:7], v[2:3], -v[0:1]
	v_add_f64 v[0:1], v[16:17], -v[12:13]
	v_add_f64 v[2:3], v[20:21], -v[24:25]
	s_delay_alu instid0(VALU_DEP_1) | instskip(SKIP_2) | instid1(VALU_DEP_1)
	v_add_f64 v[8:9], v[0:1], v[2:3]
	v_add_f64 v[0:1], v[18:19], -v[14:15]
	v_add_f64 v[2:3], v[22:23], -v[26:27]
	v_add_f64 v[10:11], v[0:1], v[2:3]
	ds_load_b128 v[0:3], v230
	s_waitcnt lgkmcnt(0)
	v_fma_f64 v[44:45], v[4:5], -0.5, v[0:1]
	v_add_f64 v[4:5], v[14:15], v[26:27]
	s_delay_alu instid0(VALU_DEP_1) | instskip(NEXT) | instid1(VALU_DEP_3)
	v_fma_f64 v[46:47], v[4:5], -0.5, v[2:3]
	v_fma_f64 v[4:5], v[48:49], s[14:15], v[44:45]
	v_fma_f64 v[44:45], v[48:49], s[16:17], v[44:45]
	s_delay_alu instid0(VALU_DEP_3) | instskip(SKIP_1) | instid1(VALU_DEP_4)
	v_fma_f64 v[6:7], v[52:53], s[16:17], v[46:47]
	v_fma_f64 v[46:47], v[52:53], s[14:15], v[46:47]
	;; [unrolled: 1-line block ×3, first 2 shown]
	s_delay_alu instid0(VALU_DEP_4) | instskip(NEXT) | instid1(VALU_DEP_4)
	v_fma_f64 v[44:45], v[50:51], s[2:3], v[44:45]
	v_fma_f64 v[6:7], v[54:55], s[2:3], v[6:7]
	s_delay_alu instid0(VALU_DEP_4) | instskip(NEXT) | instid1(VALU_DEP_4)
	v_fma_f64 v[46:47], v[54:55], s[8:9], v[46:47]
	v_fma_f64 v[4:5], v[8:9], s[12:13], v[4:5]
	s_delay_alu instid0(VALU_DEP_4) | instskip(SKIP_4) | instid1(VALU_DEP_4)
	v_fma_f64 v[8:9], v[8:9], s[12:13], v[44:45]
	v_add_f64 v[44:45], v[16:17], v[20:21]
	v_fma_f64 v[6:7], v[10:11], s[12:13], v[6:7]
	v_fma_f64 v[10:11], v[10:11], s[12:13], v[46:47]
	v_add_f64 v[46:47], v[18:19], v[22:23]
	v_fma_f64 v[44:45], v[44:45], -0.5, v[0:1]
	v_add_f64 v[0:1], v[0:1], v[12:13]
	v_add_f64 v[12:13], v[12:13], -v[16:17]
	s_delay_alu instid0(VALU_DEP_4) | instskip(SKIP_4) | instid1(VALU_DEP_4)
	v_fma_f64 v[46:47], v[46:47], -0.5, v[2:3]
	v_add_f64 v[2:3], v[2:3], v[14:15]
	v_add_f64 v[14:15], v[14:15], -v[18:19]
	v_add_f64 v[0:1], v[0:1], v[16:17]
	v_add_f64 v[16:17], v[24:25], -v[20:21]
	;; [unrolled: 2-line block ×3, first 2 shown]
	s_delay_alu instid0(VALU_DEP_4)
	v_add_f64 v[0:1], v[0:1], v[20:21]
	v_fma_f64 v[20:21], v[50:51], s[16:17], v[44:45]
	v_add_f64 v[16:17], v[12:13], v[16:17]
	v_add_f64 v[2:3], v[2:3], v[22:23]
	v_fma_f64 v[22:23], v[50:51], s[14:15], v[44:45]
	v_add_f64 v[0:1], v[0:1], v[24:25]
	v_fma_f64 v[24:25], v[54:55], s[14:15], v[46:47]
	;; [unrolled: 2-line block ×4, first 2 shown]
	v_fma_f64 v[20:21], v[48:49], s[2:3], v[22:23]
	v_fma_f64 v[14:15], v[52:53], s[2:3], v[24:25]
	;; [unrolled: 1-line block ×3, first 2 shown]
	s_delay_alu instid0(VALU_DEP_4) | instskip(NEXT) | instid1(VALU_DEP_4)
	v_fma_f64 v[22:23], v[52:53], s[8:9], v[26:27]
	v_fma_f64 v[16:17], v[16:17], s[12:13], v[20:21]
	s_delay_alu instid0(VALU_DEP_4) | instskip(NEXT) | instid1(VALU_DEP_3)
	v_fma_f64 v[14:15], v[18:19], s[12:13], v[14:15]
	v_fma_f64 v[18:19], v[18:19], s[12:13], v[22:23]
	ds_load_b128 v[20:23], v230 offset:4000
	ds_load_b128 v[24:27], v230 offset:2000
	s_waitcnt lgkmcnt(0)
	s_barrier
	buffer_gl0_inv
	ds_store_b128 v241, v[0:3]
	ds_store_b128 v241, v[12:15] offset:80
	ds_store_b128 v241, v[4:7] offset:160
	;; [unrolled: 1-line block ×4, first 2 shown]
	v_add_f64 v[0:1], v[32:33], -v[28:29]
	v_add_f64 v[2:3], v[36:37], -v[40:41]
	;; [unrolled: 1-line block ×6, first 2 shown]
	v_add_f64 v[4:5], v[0:1], v[2:3]
	v_add_f64 v[0:1], v[34:35], -v[30:31]
	v_add_f64 v[2:3], v[38:39], -v[42:43]
	s_delay_alu instid0(VALU_DEP_1) | instskip(SKIP_1) | instid1(VALU_DEP_1)
	v_add_f64 v[6:7], v[0:1], v[2:3]
	v_add_f64 v[0:1], v[28:29], v[40:41]
	v_fma_f64 v[8:9], v[0:1], -0.5, v[24:25]
	v_add_f64 v[0:1], v[30:31], v[42:43]
	s_delay_alu instid0(VALU_DEP_1) | instskip(NEXT) | instid1(VALU_DEP_3)
	v_fma_f64 v[10:11], v[0:1], -0.5, v[26:27]
	v_fma_f64 v[0:1], v[12:13], s[14:15], v[8:9]
	v_fma_f64 v[8:9], v[12:13], s[16:17], v[8:9]
	s_delay_alu instid0(VALU_DEP_3) | instskip(NEXT) | instid1(VALU_DEP_3)
	v_fma_f64 v[2:3], v[16:17], s[16:17], v[10:11]
	v_fma_f64 v[0:1], v[14:15], s[8:9], v[0:1]
	s_delay_alu instid0(VALU_DEP_3) | instskip(SKIP_1) | instid1(VALU_DEP_4)
	v_fma_f64 v[8:9], v[14:15], s[2:3], v[8:9]
	v_fma_f64 v[10:11], v[16:17], s[14:15], v[10:11]
	;; [unrolled: 1-line block ×3, first 2 shown]
	s_delay_alu instid0(VALU_DEP_4) | instskip(NEXT) | instid1(VALU_DEP_4)
	v_fma_f64 v[0:1], v[4:5], s[12:13], v[0:1]
	v_fma_f64 v[4:5], v[4:5], s[12:13], v[8:9]
	v_add_f64 v[8:9], v[32:33], v[36:37]
	v_fma_f64 v[10:11], v[18:19], s[8:9], v[10:11]
	v_fma_f64 v[2:3], v[6:7], s[12:13], v[2:3]
	s_delay_alu instid0(VALU_DEP_3) | instskip(SKIP_1) | instid1(VALU_DEP_4)
	v_fma_f64 v[44:45], v[8:9], -0.5, v[24:25]
	v_add_f64 v[8:9], v[34:35], v[38:39]
	v_fma_f64 v[6:7], v[6:7], s[12:13], v[10:11]
	v_add_f64 v[10:11], v[26:27], v[30:31]
	s_delay_alu instid0(VALU_DEP_3) | instskip(SKIP_1) | instid1(VALU_DEP_3)
	v_fma_f64 v[46:47], v[8:9], -0.5, v[26:27]
	v_add_f64 v[8:9], v[24:25], v[28:29]
	v_add_f64 v[10:11], v[10:11], v[34:35]
	v_add_f64 v[24:25], v[28:29], -v[32:33]
	v_add_f64 v[26:27], v[30:31], -v[34:35]
	;; [unrolled: 1-line block ×4, first 2 shown]
	v_fma_f64 v[34:35], v[18:19], s[14:15], v[46:47]
	v_add_f64 v[8:9], v[8:9], v[32:33]
	v_fma_f64 v[32:33], v[14:15], s[16:17], v[44:45]
	v_fma_f64 v[14:15], v[14:15], s[14:15], v[44:45]
	;; [unrolled: 1-line block ×3, first 2 shown]
	v_add_f64 v[10:11], v[10:11], v[38:39]
	v_add_f64 v[24:25], v[24:25], v[28:29]
	v_add_f64 v[26:27], v[26:27], v[30:31]
	v_add_f64 v[8:9], v[8:9], v[36:37]
	v_fma_f64 v[28:29], v[12:13], s[8:9], v[32:33]
	v_fma_f64 v[30:31], v[12:13], s[2:3], v[14:15]
	;; [unrolled: 1-line block ×4, first 2 shown]
	v_add_f64 v[10:11], v[10:11], v[42:43]
	v_add_f64 v[8:9], v[8:9], v[40:41]
	v_fma_f64 v[12:13], v[24:25], s[12:13], v[28:29]
	v_fma_f64 v[16:17], v[24:25], s[12:13], v[30:31]
	;; [unrolled: 1-line block ×4, first 2 shown]
	ds_store_b128 v255, v[8:11]
	ds_store_b128 v255, v[12:15] offset:80
	ds_store_b128 v255, v[0:3] offset:160
	;; [unrolled: 1-line block ×4, first 2 shown]
	v_add_f64 v[0:1], v[64:65], -v[62:63]
	v_add_f64 v[2:3], v[70:71], -v[72:73]
	;; [unrolled: 1-line block ×8, first 2 shown]
	v_add_f64 v[4:5], v[0:1], v[2:3]
	v_add_f64 v[0:1], v[66:67], -v[60:61]
	v_add_f64 v[2:3], v[68:69], -v[74:75]
	s_delay_alu instid0(VALU_DEP_1) | instskip(SKIP_1) | instid1(VALU_DEP_1)
	v_add_f64 v[6:7], v[0:1], v[2:3]
	v_add_f64 v[0:1], v[62:63], v[72:73]
	v_fma_f64 v[8:9], v[0:1], -0.5, v[20:21]
	v_add_f64 v[0:1], v[60:61], v[74:75]
	s_delay_alu instid0(VALU_DEP_1) | instskip(NEXT) | instid1(VALU_DEP_3)
	v_fma_f64 v[10:11], v[0:1], -0.5, v[22:23]
	v_fma_f64 v[0:1], v[12:13], s[14:15], v[8:9]
	v_fma_f64 v[8:9], v[12:13], s[16:17], v[8:9]
	s_delay_alu instid0(VALU_DEP_3) | instskip(NEXT) | instid1(VALU_DEP_3)
	v_fma_f64 v[2:3], v[16:17], s[16:17], v[10:11]
	v_fma_f64 v[0:1], v[14:15], s[8:9], v[0:1]
	s_delay_alu instid0(VALU_DEP_3) | instskip(SKIP_1) | instid1(VALU_DEP_4)
	v_fma_f64 v[8:9], v[14:15], s[2:3], v[8:9]
	v_fma_f64 v[10:11], v[16:17], s[14:15], v[10:11]
	;; [unrolled: 1-line block ×3, first 2 shown]
	s_delay_alu instid0(VALU_DEP_4) | instskip(NEXT) | instid1(VALU_DEP_4)
	v_fma_f64 v[0:1], v[4:5], s[12:13], v[0:1]
	v_fma_f64 v[4:5], v[4:5], s[12:13], v[8:9]
	v_add_f64 v[8:9], v[64:65], v[70:71]
	v_fma_f64 v[10:11], v[18:19], s[8:9], v[10:11]
	v_fma_f64 v[2:3], v[6:7], s[12:13], v[2:3]
	s_delay_alu instid0(VALU_DEP_3) | instskip(SKIP_1) | instid1(VALU_DEP_4)
	v_fma_f64 v[24:25], v[8:9], -0.5, v[20:21]
	v_add_f64 v[8:9], v[66:67], v[68:69]
	v_fma_f64 v[6:7], v[6:7], s[12:13], v[10:11]
	v_add_f64 v[10:11], v[22:23], v[60:61]
	s_delay_alu instid0(VALU_DEP_4) | instskip(NEXT) | instid1(VALU_DEP_4)
	v_fma_f64 v[32:33], v[14:15], s[16:17], v[24:25]
	v_fma_f64 v[26:27], v[8:9], -0.5, v[22:23]
	v_add_f64 v[8:9], v[20:21], v[62:63]
	v_add_f64 v[20:21], v[62:63], -v[64:65]
	v_fma_f64 v[14:15], v[14:15], s[14:15], v[24:25]
	v_add_f64 v[10:11], v[10:11], v[66:67]
	v_add_f64 v[22:23], v[60:61], -v[66:67]
	v_fma_f64 v[24:25], v[18:19], s[14:15], v[26:27]
	v_fma_f64 v[18:19], v[18:19], s[16:17], v[26:27]
	v_add_f64 v[20:21], v[20:21], v[28:29]
	v_fma_f64 v[26:27], v[12:13], s[8:9], v[32:33]
	v_fma_f64 v[28:29], v[12:13], s[2:3], v[14:15]
	v_add_f64 v[8:9], v[8:9], v[64:65]
	v_add_f64 v[10:11], v[10:11], v[68:69]
	;; [unrolled: 1-line block ×3, first 2 shown]
	v_fma_f64 v[14:15], v[16:17], s[2:3], v[24:25]
	v_fma_f64 v[18:19], v[16:17], s[8:9], v[18:19]
	v_fma_f64 v[12:13], v[20:21], s[12:13], v[26:27]
	v_fma_f64 v[16:17], v[20:21], s[12:13], v[28:29]
	scratch_load_b32 v20, off, off offset:456 ; 4-byte Folded Reload
	v_add_f64 v[8:9], v[8:9], v[70:71]
	v_add_f64 v[10:11], v[10:11], v[74:75]
	v_fma_f64 v[14:15], v[22:23], s[12:13], v[14:15]
	v_fma_f64 v[18:19], v[22:23], s[12:13], v[18:19]
	s_delay_alu instid0(VALU_DEP_4)
	v_add_f64 v[8:9], v[8:9], v[72:73]
	s_waitcnt vmcnt(0)
	ds_store_b128 v20, v[8:11]
	ds_store_b128 v20, v[12:15] offset:80
	ds_store_b128 v20, v[0:3] offset:160
	;; [unrolled: 1-line block ×4, first 2 shown]
	s_waitcnt lgkmcnt(0)
	s_barrier
	buffer_gl0_inv
	ds_load_b128 v[0:3], v230 offset:6000
	s_waitcnt lgkmcnt(0)
	v_mul_f64 v[4:5], v[239:240], v[2:3]
	s_delay_alu instid0(VALU_DEP_1) | instskip(SKIP_1) | instid1(VALU_DEP_1)
	v_fma_f64 v[12:13], v[237:238], v[0:1], v[4:5]
	v_mul_f64 v[0:1], v[239:240], v[0:1]
	v_fma_f64 v[14:15], v[237:238], v[2:3], -v[0:1]
	ds_load_b128 v[0:3], v230 offset:12000
	s_waitcnt lgkmcnt(0)
	v_mul_f64 v[4:5], v[126:127], v[2:3]
	s_delay_alu instid0(VALU_DEP_1) | instskip(SKIP_1) | instid1(VALU_DEP_1)
	v_fma_f64 v[16:17], v[124:125], v[0:1], v[4:5]
	v_mul_f64 v[0:1], v[126:127], v[0:1]
	v_fma_f64 v[18:19], v[124:125], v[2:3], -v[0:1]
	ds_load_b128 v[0:3], v230 offset:18000
	s_waitcnt lgkmcnt(0)
	v_mul_f64 v[4:5], v[122:123], v[2:3]
	s_delay_alu instid0(VALU_DEP_1) | instskip(SKIP_1) | instid1(VALU_DEP_2)
	v_fma_f64 v[20:21], v[120:121], v[0:1], v[4:5]
	v_mul_f64 v[0:1], v[122:123], v[0:1]
	v_add_f64 v[36:37], v[16:17], -v[20:21]
	s_delay_alu instid0(VALU_DEP_2) | instskip(SKIP_4) | instid1(VALU_DEP_2)
	v_fma_f64 v[22:23], v[120:121], v[2:3], -v[0:1]
	ds_load_b128 v[0:3], v230 offset:24000
	s_waitcnt lgkmcnt(0)
	v_mul_f64 v[4:5], v[130:131], v[2:3]
	v_add_f64 v[32:33], v[18:19], -v[22:23]
	v_fma_f64 v[24:25], v[128:129], v[0:1], v[4:5]
	v_mul_f64 v[0:1], v[130:131], v[0:1]
	s_delay_alu instid0(VALU_DEP_2) | instskip(NEXT) | instid1(VALU_DEP_2)
	v_add_f64 v[38:39], v[12:13], -v[24:25]
	v_fma_f64 v[26:27], v[128:129], v[2:3], -v[0:1]
	ds_load_b128 v[0:3], v230 offset:8000
	s_waitcnt lgkmcnt(0)
	v_mul_f64 v[4:5], v[138:139], v[2:3]
	v_add_f64 v[34:35], v[14:15], -v[26:27]
	s_delay_alu instid0(VALU_DEP_2) | instskip(SKIP_1) | instid1(VALU_DEP_1)
	v_fma_f64 v[78:79], v[136:137], v[0:1], v[4:5]
	v_mul_f64 v[0:1], v[138:139], v[0:1]
	v_fma_f64 v[76:77], v[136:137], v[2:3], -v[0:1]
	ds_load_b128 v[0:3], v230 offset:14000
	s_waitcnt lgkmcnt(0)
	v_mul_f64 v[4:5], v[134:135], v[2:3]
	s_delay_alu instid0(VALU_DEP_1) | instskip(SKIP_1) | instid1(VALU_DEP_1)
	v_fma_f64 v[82:83], v[132:133], v[0:1], v[4:5]
	v_mul_f64 v[0:1], v[134:135], v[0:1]
	v_fma_f64 v[84:85], v[132:133], v[2:3], -v[0:1]
	ds_load_b128 v[0:3], v230 offset:20000
	s_waitcnt lgkmcnt(0)
	v_mul_f64 v[4:5], v[142:143], v[2:3]
	s_delay_alu instid0(VALU_DEP_1) | instskip(SKIP_1) | instid1(VALU_DEP_1)
	;; [unrolled: 7-line block ×6, first 2 shown]
	v_fma_f64 v[68:69], v[188:189], v[0:1], v[4:5]
	v_mul_f64 v[0:1], v[190:191], v[0:1]
	v_fma_f64 v[70:71], v[188:189], v[2:3], -v[0:1]
	ds_load_b128 v[0:3], v230 offset:28000
	s_waitcnt lgkmcnt(0)
	v_mul_f64 v[4:5], v[194:195], v[2:3]
	s_delay_alu instid0(VALU_DEP_1) | instskip(SKIP_2) | instid1(VALU_DEP_2)
	v_fma_f64 v[72:73], v[192:193], v[0:1], v[4:5]
	v_mul_f64 v[0:1], v[194:195], v[0:1]
	v_add_f64 v[4:5], v[12:13], v[24:25]
	v_fma_f64 v[74:75], v[192:193], v[2:3], -v[0:1]
	v_add_f64 v[0:1], v[16:17], -v[12:13]
	v_add_f64 v[2:3], v[20:21], -v[24:25]
	s_delay_alu instid0(VALU_DEP_1) | instskip(SKIP_2) | instid1(VALU_DEP_1)
	v_add_f64 v[8:9], v[0:1], v[2:3]
	v_add_f64 v[0:1], v[18:19], -v[14:15]
	v_add_f64 v[2:3], v[22:23], -v[26:27]
	v_add_f64 v[10:11], v[0:1], v[2:3]
	ds_load_b128 v[0:3], v230
	s_waitcnt lgkmcnt(0)
	v_fma_f64 v[28:29], v[4:5], -0.5, v[0:1]
	v_add_f64 v[4:5], v[14:15], v[26:27]
	s_delay_alu instid0(VALU_DEP_1) | instskip(NEXT) | instid1(VALU_DEP_3)
	v_fma_f64 v[30:31], v[4:5], -0.5, v[2:3]
	v_fma_f64 v[4:5], v[32:33], s[14:15], v[28:29]
	v_fma_f64 v[28:29], v[32:33], s[16:17], v[28:29]
	s_delay_alu instid0(VALU_DEP_3) | instskip(SKIP_1) | instid1(VALU_DEP_4)
	v_fma_f64 v[6:7], v[36:37], s[16:17], v[30:31]
	v_fma_f64 v[30:31], v[36:37], s[14:15], v[30:31]
	;; [unrolled: 1-line block ×3, first 2 shown]
	s_delay_alu instid0(VALU_DEP_4) | instskip(NEXT) | instid1(VALU_DEP_4)
	v_fma_f64 v[28:29], v[34:35], s[2:3], v[28:29]
	v_fma_f64 v[6:7], v[38:39], s[2:3], v[6:7]
	s_delay_alu instid0(VALU_DEP_4) | instskip(NEXT) | instid1(VALU_DEP_4)
	v_fma_f64 v[30:31], v[38:39], s[8:9], v[30:31]
	v_fma_f64 v[4:5], v[8:9], s[12:13], v[4:5]
	s_delay_alu instid0(VALU_DEP_4) | instskip(SKIP_4) | instid1(VALU_DEP_4)
	v_fma_f64 v[8:9], v[8:9], s[12:13], v[28:29]
	v_add_f64 v[28:29], v[16:17], v[20:21]
	v_fma_f64 v[6:7], v[10:11], s[12:13], v[6:7]
	v_fma_f64 v[10:11], v[10:11], s[12:13], v[30:31]
	v_add_f64 v[30:31], v[18:19], v[22:23]
	v_fma_f64 v[28:29], v[28:29], -0.5, v[0:1]
	v_add_f64 v[0:1], v[0:1], v[12:13]
	v_add_f64 v[12:13], v[12:13], -v[16:17]
	s_delay_alu instid0(VALU_DEP_4) | instskip(SKIP_4) | instid1(VALU_DEP_4)
	v_fma_f64 v[30:31], v[30:31], -0.5, v[2:3]
	v_add_f64 v[2:3], v[2:3], v[14:15]
	v_add_f64 v[14:15], v[14:15], -v[18:19]
	v_add_f64 v[0:1], v[0:1], v[16:17]
	v_add_f64 v[16:17], v[24:25], -v[20:21]
	;; [unrolled: 2-line block ×3, first 2 shown]
	s_delay_alu instid0(VALU_DEP_4)
	v_add_f64 v[0:1], v[0:1], v[20:21]
	v_fma_f64 v[20:21], v[34:35], s[16:17], v[28:29]
	v_add_f64 v[16:17], v[12:13], v[16:17]
	v_add_f64 v[2:3], v[2:3], v[22:23]
	v_fma_f64 v[22:23], v[34:35], s[14:15], v[28:29]
	v_add_f64 v[0:1], v[0:1], v[24:25]
	v_fma_f64 v[24:25], v[38:39], s[14:15], v[30:31]
	;; [unrolled: 2-line block ×3, first 2 shown]
	v_add_f64 v[34:35], v[90:91], -v[80:81]
	v_add_f64 v[2:3], v[2:3], v[26:27]
	v_fma_f64 v[26:27], v[38:39], s[16:17], v[30:31]
	v_fma_f64 v[20:21], v[32:33], s[2:3], v[22:23]
	;; [unrolled: 1-line block ×3, first 2 shown]
	v_add_f64 v[32:33], v[88:89], -v[86:87]
	v_fma_f64 v[12:13], v[16:17], s[12:13], v[12:13]
	v_fma_f64 v[22:23], v[36:37], s[8:9], v[26:27]
	;; [unrolled: 1-line block ×4, first 2 shown]
	s_delay_alu instid0(VALU_DEP_3)
	v_fma_f64 v[18:19], v[18:19], s[12:13], v[22:23]
	ds_load_b128 v[20:23], v230 offset:4000
	ds_load_b128 v[24:27], v230 offset:2000
	s_waitcnt lgkmcnt(0)
	s_barrier
	buffer_gl0_inv
	ds_store_b128 v242, v[0:3]
	ds_store_b128 v242, v[12:15] offset:400
	ds_store_b128 v242, v[4:7] offset:800
	;; [unrolled: 1-line block ×4, first 2 shown]
	v_add_f64 v[0:1], v[82:83], -v[78:79]
	v_add_f64 v[2:3], v[86:87], -v[88:89]
	;; [unrolled: 1-line block ×6, first 2 shown]
	v_add_f64 v[4:5], v[0:1], v[2:3]
	v_add_f64 v[0:1], v[84:85], -v[76:77]
	v_add_f64 v[2:3], v[80:81], -v[90:91]
	s_delay_alu instid0(VALU_DEP_1) | instskip(SKIP_1) | instid1(VALU_DEP_1)
	v_add_f64 v[6:7], v[0:1], v[2:3]
	v_add_f64 v[0:1], v[78:79], v[88:89]
	v_fma_f64 v[8:9], v[0:1], -0.5, v[24:25]
	v_add_f64 v[0:1], v[76:77], v[90:91]
	s_delay_alu instid0(VALU_DEP_1) | instskip(NEXT) | instid1(VALU_DEP_3)
	v_fma_f64 v[10:11], v[0:1], -0.5, v[26:27]
	v_fma_f64 v[0:1], v[12:13], s[14:15], v[8:9]
	v_fma_f64 v[8:9], v[12:13], s[16:17], v[8:9]
	s_delay_alu instid0(VALU_DEP_3) | instskip(NEXT) | instid1(VALU_DEP_3)
	v_fma_f64 v[2:3], v[16:17], s[16:17], v[10:11]
	v_fma_f64 v[0:1], v[14:15], s[8:9], v[0:1]
	s_delay_alu instid0(VALU_DEP_3) | instskip(SKIP_1) | instid1(VALU_DEP_4)
	v_fma_f64 v[8:9], v[14:15], s[2:3], v[8:9]
	v_fma_f64 v[10:11], v[16:17], s[14:15], v[10:11]
	;; [unrolled: 1-line block ×3, first 2 shown]
	s_delay_alu instid0(VALU_DEP_4) | instskip(NEXT) | instid1(VALU_DEP_4)
	v_fma_f64 v[0:1], v[4:5], s[12:13], v[0:1]
	v_fma_f64 v[4:5], v[4:5], s[12:13], v[8:9]
	v_add_f64 v[8:9], v[82:83], v[86:87]
	v_fma_f64 v[10:11], v[18:19], s[8:9], v[10:11]
	v_fma_f64 v[2:3], v[6:7], s[12:13], v[2:3]
	s_delay_alu instid0(VALU_DEP_3) | instskip(SKIP_1) | instid1(VALU_DEP_4)
	v_fma_f64 v[28:29], v[8:9], -0.5, v[24:25]
	v_add_f64 v[8:9], v[84:85], v[80:81]
	v_fma_f64 v[6:7], v[6:7], s[12:13], v[10:11]
	v_add_f64 v[10:11], v[26:27], v[76:77]
	s_delay_alu instid0(VALU_DEP_4) | instskip(NEXT) | instid1(VALU_DEP_4)
	v_fma_f64 v[36:37], v[14:15], s[16:17], v[28:29]
	v_fma_f64 v[30:31], v[8:9], -0.5, v[26:27]
	v_add_f64 v[8:9], v[24:25], v[78:79]
	v_add_f64 v[24:25], v[78:79], -v[82:83]
	v_fma_f64 v[14:15], v[14:15], s[14:15], v[28:29]
	v_add_f64 v[10:11], v[10:11], v[84:85]
	v_add_f64 v[26:27], v[76:77], -v[84:85]
	v_fma_f64 v[28:29], v[18:19], s[14:15], v[30:31]
	v_fma_f64 v[18:19], v[18:19], s[16:17], v[30:31]
	v_add_f64 v[24:25], v[24:25], v[32:33]
	v_fma_f64 v[30:31], v[12:13], s[8:9], v[36:37]
	v_fma_f64 v[32:33], v[12:13], s[2:3], v[14:15]
	v_add_f64 v[8:9], v[8:9], v[82:83]
	v_add_f64 v[10:11], v[10:11], v[80:81]
	;; [unrolled: 1-line block ×3, first 2 shown]
	v_fma_f64 v[14:15], v[16:17], s[2:3], v[28:29]
	v_fma_f64 v[18:19], v[16:17], s[8:9], v[18:19]
	v_add_f64 v[28:29], v[72:73], -v[68:69]
	v_fma_f64 v[12:13], v[24:25], s[12:13], v[30:31]
	v_fma_f64 v[16:17], v[24:25], s[12:13], v[32:33]
	scratch_load_b32 v24, off, off offset:460 ; 4-byte Folded Reload
	v_add_f64 v[8:9], v[8:9], v[86:87]
	v_add_f64 v[10:11], v[10:11], v[90:91]
	v_add_f64 v[30:31], v[74:75], -v[70:71]
	v_fma_f64 v[14:15], v[26:27], s[12:13], v[14:15]
	v_fma_f64 v[18:19], v[26:27], s[12:13], v[18:19]
	v_add_f64 v[8:9], v[8:9], v[88:89]
	s_waitcnt vmcnt(0)
	ds_store_b128 v24, v[8:11]
	ds_store_b128 v24, v[12:15] offset:400
	ds_store_b128 v24, v[0:3] offset:800
	;; [unrolled: 1-line block ×4, first 2 shown]
	v_add_f64 v[0:1], v[64:65], -v[62:63]
	v_add_f64 v[2:3], v[68:69], -v[72:73]
	;; [unrolled: 1-line block ×6, first 2 shown]
	v_add_f64 v[4:5], v[0:1], v[2:3]
	v_add_f64 v[0:1], v[66:67], -v[60:61]
	v_add_f64 v[2:3], v[70:71], -v[74:75]
	s_delay_alu instid0(VALU_DEP_1) | instskip(SKIP_1) | instid1(VALU_DEP_1)
	v_add_f64 v[6:7], v[0:1], v[2:3]
	v_add_f64 v[0:1], v[62:63], v[72:73]
	v_fma_f64 v[8:9], v[0:1], -0.5, v[20:21]
	v_add_f64 v[0:1], v[60:61], v[74:75]
	s_delay_alu instid0(VALU_DEP_1) | instskip(NEXT) | instid1(VALU_DEP_3)
	v_fma_f64 v[10:11], v[0:1], -0.5, v[22:23]
	v_fma_f64 v[0:1], v[12:13], s[14:15], v[8:9]
	v_fma_f64 v[8:9], v[12:13], s[16:17], v[8:9]
	s_delay_alu instid0(VALU_DEP_3) | instskip(NEXT) | instid1(VALU_DEP_3)
	v_fma_f64 v[2:3], v[16:17], s[16:17], v[10:11]
	v_fma_f64 v[0:1], v[14:15], s[8:9], v[0:1]
	s_delay_alu instid0(VALU_DEP_3) | instskip(SKIP_1) | instid1(VALU_DEP_4)
	v_fma_f64 v[8:9], v[14:15], s[2:3], v[8:9]
	v_fma_f64 v[10:11], v[16:17], s[14:15], v[10:11]
	;; [unrolled: 1-line block ×3, first 2 shown]
	s_delay_alu instid0(VALU_DEP_4) | instskip(NEXT) | instid1(VALU_DEP_4)
	v_fma_f64 v[0:1], v[4:5], s[12:13], v[0:1]
	v_fma_f64 v[4:5], v[4:5], s[12:13], v[8:9]
	v_add_f64 v[8:9], v[64:65], v[68:69]
	v_fma_f64 v[10:11], v[18:19], s[8:9], v[10:11]
	v_fma_f64 v[2:3], v[6:7], s[12:13], v[2:3]
	s_delay_alu instid0(VALU_DEP_3) | instskip(SKIP_1) | instid1(VALU_DEP_4)
	v_fma_f64 v[24:25], v[8:9], -0.5, v[20:21]
	v_add_f64 v[8:9], v[66:67], v[70:71]
	v_fma_f64 v[6:7], v[6:7], s[12:13], v[10:11]
	v_add_f64 v[10:11], v[22:23], v[60:61]
	s_delay_alu instid0(VALU_DEP_4) | instskip(NEXT) | instid1(VALU_DEP_4)
	v_fma_f64 v[32:33], v[14:15], s[16:17], v[24:25]
	v_fma_f64 v[26:27], v[8:9], -0.5, v[22:23]
	v_add_f64 v[8:9], v[20:21], v[62:63]
	s_delay_alu instid0(VALU_DEP_4)
	v_add_f64 v[10:11], v[10:11], v[66:67]
	v_add_f64 v[20:21], v[62:63], -v[64:65]
	v_add_f64 v[22:23], v[60:61], -v[66:67]
	v_fma_f64 v[14:15], v[14:15], s[14:15], v[24:25]
	v_fma_f64 v[24:25], v[18:19], s[14:15], v[26:27]
	v_add_f64 v[8:9], v[8:9], v[64:65]
	v_fma_f64 v[18:19], v[18:19], s[16:17], v[26:27]
	v_add_f64 v[10:11], v[10:11], v[70:71]
	v_add_f64 v[20:21], v[20:21], v[28:29]
	;; [unrolled: 1-line block ×3, first 2 shown]
	v_fma_f64 v[26:27], v[12:13], s[8:9], v[32:33]
	v_fma_f64 v[28:29], v[12:13], s[2:3], v[14:15]
	;; [unrolled: 1-line block ×3, first 2 shown]
	v_add_f64 v[8:9], v[8:9], v[68:69]
	v_fma_f64 v[18:19], v[16:17], s[8:9], v[18:19]
	v_add_f64 v[10:11], v[10:11], v[74:75]
	v_fma_f64 v[12:13], v[20:21], s[12:13], v[26:27]
	v_fma_f64 v[16:17], v[20:21], s[12:13], v[28:29]
	;; [unrolled: 1-line block ×3, first 2 shown]
	v_add_f64 v[8:9], v[8:9], v[72:73]
	v_fma_f64 v[18:19], v[22:23], s[12:13], v[18:19]
	ds_store_b128 v229, v[8:11]
	ds_store_b128 v229, v[12:15] offset:400
	ds_store_b128 v229, v[0:3] offset:800
	;; [unrolled: 1-line block ×4, first 2 shown]
	s_waitcnt lgkmcnt(0)
	s_barrier
	buffer_gl0_inv
	ds_load_b128 v[0:3], v230 offset:6000
	s_waitcnt lgkmcnt(0)
	v_mul_f64 v[4:5], v[114:115], v[2:3]
	s_delay_alu instid0(VALU_DEP_1) | instskip(SKIP_1) | instid1(VALU_DEP_1)
	v_fma_f64 v[12:13], v[112:113], v[0:1], v[4:5]
	v_mul_f64 v[0:1], v[114:115], v[0:1]
	v_fma_f64 v[14:15], v[112:113], v[2:3], -v[0:1]
	ds_load_b128 v[0:3], v230 offset:8000
	s_waitcnt lgkmcnt(0)
	v_mul_f64 v[4:5], v[114:115], v[2:3]
	s_delay_alu instid0(VALU_DEP_1) | instskip(SKIP_1) | instid1(VALU_DEP_1)
	v_fma_f64 v[32:33], v[112:113], v[0:1], v[4:5]
	v_mul_f64 v[0:1], v[114:115], v[0:1]
	v_fma_f64 v[34:35], v[112:113], v[2:3], -v[0:1]
	;; [unrolled: 7-line block ×4, first 2 shown]
	ds_load_b128 v[0:3], v230 offset:18000
	s_waitcnt lgkmcnt(0)
	v_mul_f64 v[4:5], v[170:171], v[2:3]
	s_delay_alu instid0(VALU_DEP_1) | instskip(SKIP_1) | instid1(VALU_DEP_2)
	v_fma_f64 v[20:21], v[168:169], v[0:1], v[4:5]
	v_mul_f64 v[0:1], v[170:171], v[0:1]
	v_add_f64 v[54:55], v[16:17], -v[20:21]
	s_delay_alu instid0(VALU_DEP_2) | instskip(SKIP_4) | instid1(VALU_DEP_2)
	v_fma_f64 v[22:23], v[168:169], v[2:3], -v[0:1]
	ds_load_b128 v[0:3], v230 offset:20000
	s_waitcnt lgkmcnt(0)
	v_mul_f64 v[4:5], v[170:171], v[2:3]
	v_add_f64 v[50:51], v[18:19], -v[22:23]
	v_fma_f64 v[40:41], v[168:169], v[0:1], v[4:5]
	v_mul_f64 v[0:1], v[170:171], v[0:1]
	s_delay_alu instid0(VALU_DEP_2) | instskip(NEXT) | instid1(VALU_DEP_2)
	v_add_f64 v[58:59], v[36:37], -v[40:41]
	v_fma_f64 v[42:43], v[168:169], v[2:3], -v[0:1]
	ds_load_b128 v[0:3], v230 offset:24000
	s_waitcnt lgkmcnt(0)
	v_mul_f64 v[4:5], v[166:167], v[0:1]
	s_delay_alu instid0(VALU_DEP_1) | instskip(SKIP_1) | instid1(VALU_DEP_2)
	v_fma_f64 v[24:25], v[164:165], v[2:3], -v[4:5]
	v_mul_f64 v[2:3], v[166:167], v[2:3]
	v_add_f64 v[48:49], v[14:15], -v[24:25]
	s_delay_alu instid0(VALU_DEP_2) | instskip(SKIP_4) | instid1(VALU_DEP_2)
	v_fma_f64 v[26:27], v[164:165], v[0:1], v[2:3]
	ds_load_b128 v[0:3], v230 offset:26000
	s_waitcnt lgkmcnt(0)
	v_mul_f64 v[4:5], v[166:167], v[2:3]
	v_add_f64 v[52:53], v[12:13], -v[26:27]
	v_fma_f64 v[44:45], v[164:165], v[0:1], v[4:5]
	v_mul_f64 v[0:1], v[166:167], v[0:1]
	s_delay_alu instid0(VALU_DEP_2) | instskip(NEXT) | instid1(VALU_DEP_2)
	v_add_f64 v[56:57], v[32:33], -v[44:45]
	v_fma_f64 v[46:47], v[164:165], v[2:3], -v[0:1]
	ds_load_b128 v[0:3], v230 offset:10000
	s_waitcnt lgkmcnt(0)
	v_mul_f64 v[4:5], v[206:207], v[2:3]
	s_delay_alu instid0(VALU_DEP_1) | instskip(SKIP_1) | instid1(VALU_DEP_1)
	v_fma_f64 v[62:63], v[204:205], v[0:1], v[4:5]
	v_mul_f64 v[0:1], v[206:207], v[0:1]
	v_fma_f64 v[60:61], v[204:205], v[2:3], -v[0:1]
	ds_load_b128 v[0:3], v230 offset:16000
	s_waitcnt lgkmcnt(0)
	v_mul_f64 v[4:5], v[202:203], v[2:3]
	s_delay_alu instid0(VALU_DEP_1) | instskip(SKIP_1) | instid1(VALU_DEP_1)
	v_fma_f64 v[64:65], v[200:201], v[0:1], v[4:5]
	v_mul_f64 v[0:1], v[202:203], v[0:1]
	v_fma_f64 v[68:69], v[200:201], v[2:3], -v[0:1]
	ds_load_b128 v[0:3], v230 offset:22000
	s_waitcnt lgkmcnt(0)
	v_mul_f64 v[4:5], v[210:211], v[2:3]
	s_delay_alu instid0(VALU_DEP_1) | instskip(SKIP_1) | instid1(VALU_DEP_2)
	v_fma_f64 v[70:71], v[208:209], v[0:1], v[4:5]
	v_mul_f64 v[0:1], v[210:211], v[0:1]
	v_add_f64 v[76:77], v[64:65], -v[70:71]
	s_delay_alu instid0(VALU_DEP_2) | instskip(SKIP_3) | instid1(VALU_DEP_1)
	v_fma_f64 v[66:67], v[208:209], v[2:3], -v[0:1]
	ds_load_b128 v[0:3], v230 offset:28000
	s_waitcnt lgkmcnt(0)
	v_mul_f64 v[4:5], v[214:215], v[2:3]
	v_fma_f64 v[72:73], v[212:213], v[0:1], v[4:5]
	v_mul_f64 v[0:1], v[214:215], v[0:1]
	v_add_f64 v[4:5], v[16:17], v[20:21]
	s_delay_alu instid0(VALU_DEP_3) | instskip(NEXT) | instid1(VALU_DEP_3)
	v_add_f64 v[78:79], v[62:63], -v[72:73]
	v_fma_f64 v[74:75], v[212:213], v[2:3], -v[0:1]
	v_add_f64 v[0:1], v[12:13], -v[16:17]
	v_add_f64 v[2:3], v[26:27], -v[20:21]
	s_delay_alu instid0(VALU_DEP_1) | instskip(SKIP_2) | instid1(VALU_DEP_1)
	v_add_f64 v[8:9], v[0:1], v[2:3]
	v_add_f64 v[0:1], v[14:15], -v[18:19]
	v_add_f64 v[2:3], v[24:25], -v[22:23]
	v_add_f64 v[10:11], v[0:1], v[2:3]
	ds_load_b128 v[0:3], v230
	s_waitcnt lgkmcnt(0)
	v_fma_f64 v[28:29], v[4:5], -0.5, v[0:1]
	v_add_f64 v[4:5], v[18:19], v[22:23]
	s_delay_alu instid0(VALU_DEP_1) | instskip(NEXT) | instid1(VALU_DEP_3)
	v_fma_f64 v[30:31], v[4:5], -0.5, v[2:3]
	v_fma_f64 v[4:5], v[48:49], s[16:17], v[28:29]
	v_fma_f64 v[28:29], v[48:49], s[14:15], v[28:29]
	s_delay_alu instid0(VALU_DEP_3) | instskip(SKIP_1) | instid1(VALU_DEP_4)
	v_fma_f64 v[6:7], v[52:53], s[14:15], v[30:31]
	v_fma_f64 v[30:31], v[52:53], s[16:17], v[30:31]
	;; [unrolled: 1-line block ×3, first 2 shown]
	s_delay_alu instid0(VALU_DEP_4) | instskip(NEXT) | instid1(VALU_DEP_4)
	v_fma_f64 v[28:29], v[50:51], s[2:3], v[28:29]
	v_fma_f64 v[6:7], v[54:55], s[2:3], v[6:7]
	s_delay_alu instid0(VALU_DEP_4) | instskip(NEXT) | instid1(VALU_DEP_4)
	v_fma_f64 v[30:31], v[54:55], s[8:9], v[30:31]
	v_fma_f64 v[4:5], v[8:9], s[12:13], v[4:5]
	s_delay_alu instid0(VALU_DEP_4) | instskip(SKIP_4) | instid1(VALU_DEP_4)
	v_fma_f64 v[8:9], v[8:9], s[12:13], v[28:29]
	v_add_f64 v[28:29], v[12:13], v[26:27]
	v_fma_f64 v[6:7], v[10:11], s[12:13], v[6:7]
	v_fma_f64 v[10:11], v[10:11], s[12:13], v[30:31]
	v_add_f64 v[30:31], v[14:15], v[24:25]
	v_fma_f64 v[28:29], v[28:29], -0.5, v[0:1]
	v_add_f64 v[0:1], v[0:1], v[12:13]
	v_add_f64 v[12:13], v[16:17], -v[12:13]
	s_delay_alu instid0(VALU_DEP_4) | instskip(SKIP_4) | instid1(VALU_DEP_4)
	v_fma_f64 v[30:31], v[30:31], -0.5, v[2:3]
	v_add_f64 v[2:3], v[2:3], v[14:15]
	v_add_f64 v[14:15], v[18:19], -v[14:15]
	v_add_f64 v[0:1], v[0:1], v[16:17]
	v_add_f64 v[16:17], v[20:21], -v[26:27]
	;; [unrolled: 2-line block ×3, first 2 shown]
	s_delay_alu instid0(VALU_DEP_4)
	v_add_f64 v[0:1], v[0:1], v[20:21]
	v_fma_f64 v[20:21], v[50:51], s[14:15], v[28:29]
	v_add_f64 v[16:17], v[12:13], v[16:17]
	v_add_f64 v[2:3], v[2:3], v[22:23]
	v_fma_f64 v[22:23], v[50:51], s[16:17], v[28:29]
	v_add_f64 v[0:1], v[0:1], v[26:27]
	v_fma_f64 v[26:27], v[54:55], s[14:15], v[30:31]
	;; [unrolled: 2-line block ×4, first 2 shown]
	v_fma_f64 v[20:21], v[48:49], s[2:3], v[22:23]
	v_fma_f64 v[22:23], v[52:53], s[8:9], v[26:27]
	v_add_f64 v[54:55], v[38:39], -v[42:43]
	v_fma_f64 v[12:13], v[16:17], s[12:13], v[12:13]
	v_fma_f64 v[14:15], v[52:53], s[2:3], v[24:25]
	;; [unrolled: 1-line block ×3, first 2 shown]
	v_add_f64 v[20:21], v[32:33], -v[36:37]
	v_add_f64 v[24:25], v[36:37], v[40:41]
	v_add_f64 v[52:53], v[34:35], -v[46:47]
	v_fma_f64 v[14:15], v[18:19], s[12:13], v[14:15]
	v_fma_f64 v[18:19], v[18:19], s[12:13], v[22:23]
	v_add_f64 v[22:23], v[44:45], -v[40:41]
	s_delay_alu instid0(VALU_DEP_1) | instskip(SKIP_2) | instid1(VALU_DEP_1)
	v_add_f64 v[28:29], v[20:21], v[22:23]
	v_add_f64 v[20:21], v[34:35], -v[38:39]
	v_add_f64 v[22:23], v[46:47], -v[42:43]
	v_add_f64 v[30:31], v[20:21], v[22:23]
	ds_load_b128 v[20:23], v230 offset:2000
	s_waitcnt lgkmcnt(0)
	v_fma_f64 v[48:49], v[24:25], -0.5, v[20:21]
	v_add_f64 v[24:25], v[38:39], v[42:43]
	s_delay_alu instid0(VALU_DEP_1) | instskip(NEXT) | instid1(VALU_DEP_3)
	v_fma_f64 v[50:51], v[24:25], -0.5, v[22:23]
	v_fma_f64 v[24:25], v[52:53], s[16:17], v[48:49]
	v_fma_f64 v[48:49], v[52:53], s[14:15], v[48:49]
	s_delay_alu instid0(VALU_DEP_3) | instskip(SKIP_1) | instid1(VALU_DEP_4)
	v_fma_f64 v[26:27], v[56:57], s[14:15], v[50:51]
	v_fma_f64 v[50:51], v[56:57], s[16:17], v[50:51]
	v_fma_f64 v[24:25], v[54:55], s[8:9], v[24:25]
	s_delay_alu instid0(VALU_DEP_4) | instskip(NEXT) | instid1(VALU_DEP_4)
	v_fma_f64 v[48:49], v[54:55], s[2:3], v[48:49]
	v_fma_f64 v[26:27], v[58:59], s[2:3], v[26:27]
	s_delay_alu instid0(VALU_DEP_4) | instskip(NEXT) | instid1(VALU_DEP_4)
	v_fma_f64 v[50:51], v[58:59], s[8:9], v[50:51]
	v_fma_f64 v[24:25], v[28:29], s[12:13], v[24:25]
	s_delay_alu instid0(VALU_DEP_4) | instskip(SKIP_4) | instid1(VALU_DEP_4)
	v_fma_f64 v[28:29], v[28:29], s[12:13], v[48:49]
	v_add_f64 v[48:49], v[32:33], v[44:45]
	v_fma_f64 v[26:27], v[30:31], s[12:13], v[26:27]
	v_fma_f64 v[30:31], v[30:31], s[12:13], v[50:51]
	v_add_f64 v[50:51], v[34:35], v[46:47]
	v_fma_f64 v[48:49], v[48:49], -0.5, v[20:21]
	v_add_f64 v[20:21], v[20:21], v[32:33]
	v_add_f64 v[32:33], v[36:37], -v[32:33]
	s_delay_alu instid0(VALU_DEP_4) | instskip(SKIP_4) | instid1(VALU_DEP_4)
	v_fma_f64 v[50:51], v[50:51], -0.5, v[22:23]
	v_add_f64 v[22:23], v[22:23], v[34:35]
	v_add_f64 v[34:35], v[38:39], -v[34:35]
	v_add_f64 v[20:21], v[20:21], v[36:37]
	v_add_f64 v[36:37], v[40:41], -v[44:45]
	;; [unrolled: 2-line block ×3, first 2 shown]
	s_delay_alu instid0(VALU_DEP_4)
	v_add_f64 v[20:21], v[20:21], v[40:41]
	v_fma_f64 v[40:41], v[54:55], s[14:15], v[48:49]
	v_add_f64 v[36:37], v[32:33], v[36:37]
	v_add_f64 v[22:23], v[22:23], v[42:43]
	v_fma_f64 v[42:43], v[54:55], s[16:17], v[48:49]
	v_add_f64 v[20:21], v[20:21], v[44:45]
	v_fma_f64 v[44:45], v[58:59], s[16:17], v[50:51]
	;; [unrolled: 2-line block ×4, first 2 shown]
	v_fma_f64 v[40:41], v[52:53], s[2:3], v[42:43]
	v_fma_f64 v[34:35], v[56:57], s[2:3], v[44:45]
	v_add_f64 v[44:45], v[62:63], v[72:73]
	v_fma_f64 v[32:33], v[36:37], s[12:13], v[32:33]
	v_add_f64 v[58:59], v[60:61], -v[74:75]
	v_fma_f64 v[42:43], v[56:57], s[8:9], v[46:47]
	v_fma_f64 v[36:37], v[36:37], s[12:13], v[40:41]
	;; [unrolled: 1-line block ×3, first 2 shown]
	v_add_f64 v[40:41], v[64:65], -v[62:63]
	v_add_f64 v[56:57], v[68:69], -v[66:67]
	v_fma_f64 v[38:39], v[38:39], s[12:13], v[42:43]
	v_add_f64 v[42:43], v[70:71], -v[72:73]
	s_delay_alu instid0(VALU_DEP_1) | instskip(SKIP_2) | instid1(VALU_DEP_1)
	v_add_f64 v[48:49], v[40:41], v[42:43]
	v_add_f64 v[40:41], v[68:69], -v[60:61]
	v_add_f64 v[42:43], v[66:67], -v[74:75]
	v_add_f64 v[50:51], v[40:41], v[42:43]
	ds_load_b128 v[40:43], v230 offset:4000
	s_waitcnt lgkmcnt(0)
	s_barrier
	buffer_gl0_inv
	v_fma_f64 v[52:53], v[44:45], -0.5, v[40:41]
	v_add_f64 v[44:45], v[60:61], v[74:75]
	s_delay_alu instid0(VALU_DEP_1) | instskip(NEXT) | instid1(VALU_DEP_3)
	v_fma_f64 v[54:55], v[44:45], -0.5, v[42:43]
	v_fma_f64 v[44:45], v[56:57], s[14:15], v[52:53]
	v_fma_f64 v[52:53], v[56:57], s[16:17], v[52:53]
	s_delay_alu instid0(VALU_DEP_3) | instskip(SKIP_1) | instid1(VALU_DEP_4)
	v_fma_f64 v[46:47], v[76:77], s[16:17], v[54:55]
	v_fma_f64 v[54:55], v[76:77], s[14:15], v[54:55]
	v_fma_f64 v[44:45], v[58:59], s[8:9], v[44:45]
	s_delay_alu instid0(VALU_DEP_4) | instskip(NEXT) | instid1(VALU_DEP_4)
	v_fma_f64 v[52:53], v[58:59], s[2:3], v[52:53]
	v_fma_f64 v[46:47], v[78:79], s[2:3], v[46:47]
	s_delay_alu instid0(VALU_DEP_4) | instskip(NEXT) | instid1(VALU_DEP_4)
	v_fma_f64 v[54:55], v[78:79], s[8:9], v[54:55]
	v_fma_f64 v[44:45], v[48:49], s[12:13], v[44:45]
	s_delay_alu instid0(VALU_DEP_4) | instskip(SKIP_4) | instid1(VALU_DEP_4)
	v_fma_f64 v[48:49], v[48:49], s[12:13], v[52:53]
	v_add_f64 v[52:53], v[64:65], v[70:71]
	v_fma_f64 v[46:47], v[50:51], s[12:13], v[46:47]
	v_fma_f64 v[50:51], v[50:51], s[12:13], v[54:55]
	v_add_f64 v[54:55], v[68:69], v[66:67]
	v_fma_f64 v[52:53], v[52:53], -0.5, v[40:41]
	v_add_f64 v[40:41], v[40:41], v[62:63]
	v_add_f64 v[62:63], v[62:63], -v[64:65]
	s_delay_alu instid0(VALU_DEP_4) | instskip(SKIP_4) | instid1(VALU_DEP_4)
	v_fma_f64 v[54:55], v[54:55], -0.5, v[42:43]
	v_add_f64 v[42:43], v[42:43], v[60:61]
	v_add_f64 v[60:61], v[60:61], -v[68:69]
	v_add_f64 v[40:41], v[40:41], v[64:65]
	v_add_f64 v[64:65], v[72:73], -v[70:71]
	v_add_f64 v[42:43], v[42:43], v[68:69]
	v_fma_f64 v[68:69], v[58:59], s[16:17], v[52:53]
	v_fma_f64 v[52:53], v[58:59], s[14:15], v[52:53]
	;; [unrolled: 1-line block ×4, first 2 shown]
	v_add_f64 v[40:41], v[40:41], v[70:71]
	v_add_f64 v[62:63], v[62:63], v[64:65]
	;; [unrolled: 1-line block ×3, first 2 shown]
	v_add_f64 v[66:67], v[74:75], -v[66:67]
	v_fma_f64 v[64:65], v[56:57], s[8:9], v[68:69]
	v_fma_f64 v[58:59], v[76:77], s[2:3], v[58:59]
	;; [unrolled: 1-line block ×3, first 2 shown]
	v_add_f64 v[40:41], v[40:41], v[72:73]
	s_mul_i32 s2, s5, 0x1770
	s_mul_hi_u32 s3, s4, 0x1770
	s_delay_alu instid0(SALU_CYCLE_1) | instskip(SKIP_1) | instid1(SALU_CYCLE_1)
	s_add_i32 s3, s3, s2
	s_mul_i32 s2, s5, 0xffffaa10
	s_sub_i32 s2, s2, s4
	v_add_f64 v[42:43], v[42:43], v[74:75]
	v_add_f64 v[60:61], v[60:61], v[66:67]
	v_fma_f64 v[66:67], v[76:77], s[8:9], v[54:55]
	v_fma_f64 v[52:53], v[62:63], s[12:13], v[64:65]
	v_fma_f64 v[56:57], v[62:63], s[12:13], v[56:57]
	s_delay_alu instid0(VALU_DEP_4) | instskip(NEXT) | instid1(VALU_DEP_4)
	v_fma_f64 v[54:55], v[60:61], s[12:13], v[58:59]
	v_fma_f64 v[58:59], v[60:61], s[12:13], v[66:67]
	ds_store_b128 v230, v[0:3]
	ds_store_b128 v230, v[20:23] offset:10000
	ds_store_b128 v230, v[4:7] offset:2000
	ds_store_b128 v230, v[12:15] offset:4000
	ds_store_b128 v230, v[16:19] offset:6000
	ds_store_b128 v230, v[8:11] offset:8000
	ds_store_b128 v230, v[24:27] offset:12000
	ds_store_b128 v230, v[32:35] offset:14000
	ds_store_b128 v230, v[36:39] offset:16000
	ds_store_b128 v230, v[28:31] offset:18000
	ds_store_b128 v228, v[40:43] offset:20000
	ds_store_b128 v228, v[52:55] offset:22000
	ds_store_b128 v228, v[44:47] offset:24000
	ds_store_b128 v228, v[48:51] offset:26000
	ds_store_b128 v228, v[56:59] offset:28000
	s_waitcnt lgkmcnt(0)
	s_barrier
	buffer_gl0_inv
	ds_load_b128 v[0:3], v230 offset:10000
	s_waitcnt lgkmcnt(0)
	v_mul_f64 v[4:5], v[118:119], v[2:3]
	s_delay_alu instid0(VALU_DEP_1) | instskip(SKIP_1) | instid1(VALU_DEP_1)
	v_fma_f64 v[4:5], v[116:117], v[0:1], v[4:5]
	v_mul_f64 v[0:1], v[118:119], v[0:1]
	v_fma_f64 v[6:7], v[116:117], v[2:3], -v[0:1]
	ds_load_b128 v[0:3], v230 offset:20000
	s_waitcnt lgkmcnt(0)
	v_mul_f64 v[8:9], v[150:151], v[2:3]
	s_delay_alu instid0(VALU_DEP_1) | instskip(SKIP_1) | instid1(VALU_DEP_1)
	v_fma_f64 v[8:9], v[148:149], v[0:1], v[8:9]
	v_mul_f64 v[0:1], v[150:151], v[0:1]
	v_fma_f64 v[10:11], v[148:149], v[2:3], -v[0:1]
	ds_load_b128 v[0:3], v230 offset:12000
	s_waitcnt lgkmcnt(0)
	v_mul_f64 v[12:13], v[162:163], v[2:3]
	v_add_f64 v[14:15], v[6:7], v[10:11]
	s_delay_alu instid0(VALU_DEP_2) | instskip(SKIP_1) | instid1(VALU_DEP_1)
	v_fma_f64 v[16:17], v[160:161], v[0:1], v[12:13]
	v_mul_f64 v[0:1], v[162:163], v[0:1]
	v_fma_f64 v[18:19], v[160:161], v[2:3], -v[0:1]
	ds_load_b128 v[0:3], v230 offset:22000
	s_waitcnt lgkmcnt(0)
	v_mul_f64 v[12:13], v[174:175], v[2:3]
	s_delay_alu instid0(VALU_DEP_1) | instskip(SKIP_1) | instid1(VALU_DEP_2)
	v_fma_f64 v[20:21], v[172:173], v[0:1], v[12:13]
	v_mul_f64 v[0:1], v[174:175], v[0:1]
	v_add_f64 v[24:25], v[16:17], v[20:21]
	s_delay_alu instid0(VALU_DEP_2) | instskip(SKIP_4) | instid1(VALU_DEP_2)
	v_fma_f64 v[22:23], v[172:173], v[2:3], -v[0:1]
	ds_load_b128 v[0:3], v230 offset:14000
	s_waitcnt lgkmcnt(0)
	v_mul_f64 v[12:13], v[182:183], v[2:3]
	v_add_f64 v[26:27], v[18:19], v[22:23]
	v_fma_f64 v[28:29], v[180:181], v[0:1], v[12:13]
	v_mul_f64 v[0:1], v[182:183], v[0:1]
	s_delay_alu instid0(VALU_DEP_1) | instskip(SKIP_3) | instid1(VALU_DEP_1)
	v_fma_f64 v[30:31], v[180:181], v[2:3], -v[0:1]
	ds_load_b128 v[0:3], v230 offset:24000
	s_waitcnt lgkmcnt(0)
	v_mul_f64 v[12:13], v[186:187], v[2:3]
	v_fma_f64 v[32:33], v[184:185], v[0:1], v[12:13]
	v_mul_f64 v[0:1], v[186:187], v[0:1]
	s_delay_alu instid0(VALU_DEP_2) | instskip(NEXT) | instid1(VALU_DEP_2)
	v_add_f64 v[36:37], v[28:29], v[32:33]
	v_fma_f64 v[34:35], v[184:185], v[2:3], -v[0:1]
	ds_load_b128 v[0:3], v230 offset:16000
	s_waitcnt lgkmcnt(0)
	v_mul_f64 v[12:13], v[198:199], v[2:3]
	v_add_f64 v[38:39], v[30:31], v[34:35]
	s_delay_alu instid0(VALU_DEP_2) | instskip(SKIP_1) | instid1(VALU_DEP_1)
	v_fma_f64 v[40:41], v[196:197], v[0:1], v[12:13]
	v_mul_f64 v[0:1], v[198:199], v[0:1]
	v_fma_f64 v[42:43], v[196:197], v[2:3], -v[0:1]
	ds_load_b128 v[0:3], v230 offset:26000
	s_waitcnt lgkmcnt(0)
	v_mul_f64 v[12:13], v[218:219], v[2:3]
	s_delay_alu instid0(VALU_DEP_1) | instskip(SKIP_1) | instid1(VALU_DEP_2)
	v_fma_f64 v[44:45], v[216:217], v[0:1], v[12:13]
	v_mul_f64 v[0:1], v[218:219], v[0:1]
	v_add_f64 v[48:49], v[40:41], v[44:45]
	s_delay_alu instid0(VALU_DEP_2) | instskip(SKIP_4) | instid1(VALU_DEP_2)
	v_fma_f64 v[46:47], v[216:217], v[2:3], -v[0:1]
	ds_load_b128 v[0:3], v230 offset:18000
	s_waitcnt lgkmcnt(0)
	v_mul_f64 v[12:13], v[222:223], v[2:3]
	v_add_f64 v[50:51], v[42:43], v[46:47]
	v_fma_f64 v[52:53], v[220:221], v[0:1], v[12:13]
	v_mul_f64 v[0:1], v[222:223], v[0:1]
	s_delay_alu instid0(VALU_DEP_1) | instskip(SKIP_3) | instid1(VALU_DEP_1)
	v_fma_f64 v[54:55], v[220:221], v[2:3], -v[0:1]
	ds_load_b128 v[0:3], v230 offset:28000
	s_waitcnt lgkmcnt(0)
	v_mul_f64 v[12:13], v[226:227], v[2:3]
	v_fma_f64 v[56:57], v[224:225], v[0:1], v[12:13]
	v_mul_f64 v[0:1], v[226:227], v[0:1]
	v_add_f64 v[12:13], v[4:5], v[8:9]
	s_delay_alu instid0(VALU_DEP_3) | instskip(NEXT) | instid1(VALU_DEP_3)
	v_add_f64 v[60:61], v[52:53], v[56:57]
	v_fma_f64 v[58:59], v[224:225], v[2:3], -v[0:1]
	ds_load_b128 v[0:3], v230
	s_waitcnt lgkmcnt(0)
	v_fma_f64 v[14:15], v[14:15], -0.5, v[2:3]
	v_add_f64 v[2:3], v[2:3], v[6:7]
	v_fma_f64 v[12:13], v[12:13], -0.5, v[0:1]
	v_add_f64 v[0:1], v[0:1], v[4:5]
	v_add_f64 v[6:7], v[6:7], -v[10:11]
	v_add_f64 v[62:63], v[54:55], v[58:59]
	v_add_f64 v[2:3], v[2:3], v[10:11]
	v_add_f64 v[10:11], v[4:5], -v[8:9]
	v_add_f64 v[0:1], v[0:1], v[8:9]
	v_fma_f64 v[4:5], v[6:7], s[18:19], v[12:13]
	v_fma_f64 v[8:9], v[6:7], s[10:11], v[12:13]
	s_delay_alu instid0(VALU_DEP_4)
	v_fma_f64 v[6:7], v[10:11], s[10:11], v[14:15]
	v_fma_f64 v[10:11], v[10:11], s[18:19], v[14:15]
	ds_load_b128 v[12:15], v230 offset:2000
	s_waitcnt lgkmcnt(0)
	v_fma_f64 v[26:27], v[26:27], -0.5, v[14:15]
	v_add_f64 v[14:15], v[14:15], v[18:19]
	v_fma_f64 v[24:25], v[24:25], -0.5, v[12:13]
	v_add_f64 v[12:13], v[12:13], v[16:17]
	v_add_f64 v[18:19], v[18:19], -v[22:23]
	s_delay_alu instid0(VALU_DEP_4) | instskip(SKIP_1) | instid1(VALU_DEP_4)
	v_add_f64 v[14:15], v[14:15], v[22:23]
	v_add_f64 v[22:23], v[16:17], -v[20:21]
	v_add_f64 v[12:13], v[12:13], v[20:21]
	s_delay_alu instid0(VALU_DEP_4) | instskip(SKIP_1) | instid1(VALU_DEP_4)
	v_fma_f64 v[16:17], v[18:19], s[18:19], v[24:25]
	v_fma_f64 v[20:21], v[18:19], s[10:11], v[24:25]
	v_fma_f64 v[18:19], v[22:23], s[10:11], v[26:27]
	v_fma_f64 v[22:23], v[22:23], s[18:19], v[26:27]
	ds_load_b128 v[24:27], v230 offset:4000
	s_waitcnt lgkmcnt(0)
	v_fma_f64 v[38:39], v[38:39], -0.5, v[26:27]
	v_add_f64 v[26:27], v[26:27], v[30:31]
	v_fma_f64 v[36:37], v[36:37], -0.5, v[24:25]
	v_add_f64 v[24:25], v[24:25], v[28:29]
	v_add_f64 v[30:31], v[30:31], -v[34:35]
	s_delay_alu instid0(VALU_DEP_4) | instskip(SKIP_1) | instid1(VALU_DEP_4)
	v_add_f64 v[26:27], v[26:27], v[34:35]
	v_add_f64 v[34:35], v[28:29], -v[32:33]
	v_add_f64 v[24:25], v[24:25], v[32:33]
	s_delay_alu instid0(VALU_DEP_4) | instskip(SKIP_1) | instid1(VALU_DEP_4)
	v_fma_f64 v[28:29], v[30:31], s[18:19], v[36:37]
	v_fma_f64 v[32:33], v[30:31], s[10:11], v[36:37]
	;; [unrolled: 16-line block ×4, first 2 shown]
	v_fma_f64 v[54:55], v[58:59], s[10:11], v[62:63]
	v_fma_f64 v[58:59], v[58:59], s[18:19], v[62:63]
	ds_store_b128 v230, v[0:3]
	ds_store_b128 v230, v[12:15] offset:2000
	ds_store_b128 v230, v[24:27] offset:4000
	;; [unrolled: 1-line block ×14, first 2 shown]
	s_waitcnt lgkmcnt(0)
	s_barrier
	buffer_gl0_inv
	s_clause 0x5
	scratch_load_b128 v[6:9], off, off offset:184
	scratch_load_b128 v[50:53], off, off offset:168
	;; [unrolled: 1-line block ×6, first 2 shown]
	ds_load_b128 v[0:3], v230
	s_clause 0x9
	scratch_load_b128 v[26:29], off, off offset:72
	scratch_load_b128 v[30:33], off, off offset:88
	;; [unrolled: 1-line block ×9, first 2 shown]
	scratch_load_b32 v66, off, off offset:248
	s_waitcnt vmcnt(15) lgkmcnt(0)
	v_mul_f64 v[4:5], v[8:9], v[2:3]
	s_delay_alu instid0(VALU_DEP_1) | instskip(SKIP_1) | instid1(VALU_DEP_1)
	v_fma_f64 v[4:5], v[6:7], v[0:1], v[4:5]
	v_mul_f64 v[0:1], v[8:9], v[0:1]
	v_fma_f64 v[6:7], v[6:7], v[2:3], -v[0:1]
	ds_load_b128 v[0:3], v230 offset:6000
	s_waitcnt vmcnt(13) lgkmcnt(0)
	v_mul_f64 v[8:9], v[12:13], v[2:3]
	s_delay_alu instid0(VALU_DEP_1) | instskip(SKIP_1) | instid1(VALU_DEP_1)
	v_fma_f64 v[8:9], v[10:11], v[0:1], v[8:9]
	v_mul_f64 v[0:1], v[12:13], v[0:1]
	v_fma_f64 v[10:11], v[10:11], v[2:3], -v[0:1]
	ds_load_b128 v[0:3], v230 offset:12000
	;; [unrolled: 7-line block ×11, first 2 shown]
	s_waitcnt lgkmcnt(0)
	v_mul_f64 v[48:49], v[52:53], v[2:3]
	s_delay_alu instid0(VALU_DEP_1) | instskip(SKIP_1) | instid1(VALU_DEP_1)
	v_fma_f64 v[48:49], v[50:51], v[0:1], v[48:49]
	v_mul_f64 v[0:1], v[52:53], v[0:1]
	v_fma_f64 v[50:51], v[50:51], v[2:3], -v[0:1]
	ds_load_b128 v[0:3], v230 offset:16000
	s_waitcnt vmcnt(3) lgkmcnt(0)
	v_mul_f64 v[52:53], v[56:57], v[2:3]
	s_delay_alu instid0(VALU_DEP_1) | instskip(SKIP_1) | instid1(VALU_DEP_1)
	v_fma_f64 v[52:53], v[54:55], v[0:1], v[52:53]
	v_mul_f64 v[0:1], v[56:57], v[0:1]
	v_fma_f64 v[54:55], v[54:55], v[2:3], -v[0:1]
	ds_load_b128 v[0:3], v230 offset:22000
	s_waitcnt vmcnt(2) lgkmcnt(0)
	;; [unrolled: 7-line block ×3, first 2 shown]
	v_mul_f64 v[60:61], v[64:65], v[2:3]
	s_delay_alu instid0(VALU_DEP_1)
	v_fma_f64 v[60:61], v[62:63], v[0:1], v[60:61]
	v_mul_f64 v[0:1], v[64:65], v[0:1]
	scratch_load_b64 v[64:65], off, off     ; 8-byte Folded Reload
	v_fma_f64 v[62:63], v[62:63], v[2:3], -v[0:1]
	s_waitcnt vmcnt(0)
	v_mad_u64_u32 v[0:1], null, s6, v64, 0
	s_mul_i32 s6, s4, 0x1770
	s_delay_alu instid0(VALU_DEP_1) | instskip(NEXT) | instid1(VALU_DEP_1)
	v_mad_u64_u32 v[2:3], null, s7, v64, v[1:2]
	v_mov_b32_e32 v1, v2
	v_mad_u64_u32 v[2:3], null, s4, v66, 0
	s_delay_alu instid0(VALU_DEP_2) | instskip(NEXT) | instid1(VALU_DEP_2)
	v_lshlrev_b64 v[0:1], 4, v[0:1]
	v_mad_u64_u32 v[64:65], null, s5, v66, v[3:4]
	s_delay_alu instid0(VALU_DEP_1) | instskip(NEXT) | instid1(VALU_DEP_3)
	v_mov_b32_e32 v3, v64
	v_add_co_u32 v64, vcc_lo, s0, v0
	s_delay_alu instid0(VALU_DEP_4) | instskip(NEXT) | instid1(VALU_DEP_3)
	v_add_co_ci_u32_e32 v65, vcc_lo, s1, v1, vcc_lo
	v_lshlrev_b64 v[0:1], 4, v[2:3]
	s_mov_b32 s0, 0x9cbd821e
	s_mov_b32 s1, 0x3f4179ec
	s_delay_alu instid0(SALU_CYCLE_1) | instskip(NEXT) | instid1(VALU_DEP_2)
	v_mul_f64 v[2:3], v[6:7], s[0:1]
	v_add_co_u32 v64, vcc_lo, v64, v0
	s_delay_alu instid0(VALU_DEP_3) | instskip(SKIP_1) | instid1(VALU_DEP_3)
	v_add_co_ci_u32_e32 v65, vcc_lo, v65, v1, vcc_lo
	v_mul_f64 v[0:1], v[4:5], s[0:1]
	v_add_co_u32 v4, vcc_lo, v64, s6
	s_delay_alu instid0(VALU_DEP_3)
	v_add_co_ci_u32_e32 v5, vcc_lo, s3, v65, vcc_lo
	global_store_b128 v[64:65], v[0:3], off
	v_mul_f64 v[0:1], v[8:9], s[0:1]
	v_mul_f64 v[2:3], v[10:11], s[0:1]
	v_mul_f64 v[10:11], v[46:47], s[0:1]
	global_store_b128 v[4:5], v[0:3], off
	v_mul_f64 v[0:1], v[12:13], s[0:1]
	v_mul_f64 v[2:3], v[14:15], s[0:1]
	v_add_co_u32 v4, vcc_lo, v4, s6
	v_add_co_ci_u32_e32 v5, vcc_lo, s3, v5, vcc_lo
	v_mul_f64 v[12:13], v[48:49], s[0:1]
	v_mul_f64 v[14:15], v[50:51], s[0:1]
	global_store_b128 v[4:5], v[0:3], off
	v_mul_f64 v[0:1], v[16:17], s[0:1]
	v_mul_f64 v[2:3], v[18:19], s[0:1]
	v_add_co_u32 v4, vcc_lo, v4, s6
	v_add_co_ci_u32_e32 v5, vcc_lo, s3, v5, vcc_lo
	v_mul_f64 v[16:17], v[52:53], s[0:1]
	v_mul_f64 v[18:19], v[54:55], s[0:1]
	;; [unrolled: 7-line block ×3, first 2 shown]
	s_delay_alu instid0(VALU_DEP_3) | instskip(NEXT) | instid1(VALU_DEP_1)
	v_mad_u64_u32 v[6:7], null, 0xffffaa10, s4, v[4:5]
	v_add_nc_u32_e32 v7, s2, v7
	global_store_b128 v[4:5], v[0:3], off
	v_mul_f64 v[0:1], v[24:25], s[0:1]
	v_mul_f64 v[2:3], v[26:27], s[0:1]
	v_add_co_u32 v4, vcc_lo, v6, s6
	v_add_co_ci_u32_e32 v5, vcc_lo, s3, v7, vcc_lo
	v_mul_f64 v[24:25], v[60:61], s[0:1]
	s_delay_alu instid0(VALU_DEP_3) | instskip(NEXT) | instid1(VALU_DEP_3)
	v_add_co_u32 v8, vcc_lo, v4, s6
	v_add_co_ci_u32_e32 v9, vcc_lo, s3, v5, vcc_lo
	v_mul_f64 v[26:27], v[62:63], s[0:1]
	global_store_b128 v[6:7], v[0:3], off
	v_mul_f64 v[0:1], v[28:29], s[0:1]
	v_mul_f64 v[2:3], v[30:31], s[0:1]
	v_mul_f64 v[6:7], v[38:39], s[0:1]
	v_add_co_u32 v28, vcc_lo, v8, s6
	v_add_co_ci_u32_e32 v29, vcc_lo, s3, v9, vcc_lo
	s_delay_alu instid0(VALU_DEP_2) | instskip(NEXT) | instid1(VALU_DEP_2)
	v_add_co_u32 v30, vcc_lo, v28, s6
	v_add_co_ci_u32_e32 v31, vcc_lo, s3, v29, vcc_lo
	global_store_b128 v[4:5], v[0:3], off
	v_mul_f64 v[0:1], v[32:33], s[0:1]
	v_mul_f64 v[2:3], v[34:35], s[0:1]
	;; [unrolled: 1-line block ×3, first 2 shown]
	v_mad_u64_u32 v[32:33], null, 0xffffaa10, s4, v[30:31]
	s_delay_alu instid0(VALU_DEP_1) | instskip(NEXT) | instid1(VALU_DEP_2)
	v_add_nc_u32_e32 v33, s2, v33
	v_add_co_u32 v34, vcc_lo, v32, s6
	s_delay_alu instid0(VALU_DEP_2)
	v_add_co_ci_u32_e32 v35, vcc_lo, s3, v33, vcc_lo
	global_store_b128 v[8:9], v[0:3], off
	v_mul_f64 v[0:1], v[40:41], s[0:1]
	v_mul_f64 v[2:3], v[42:43], s[0:1]
	;; [unrolled: 1-line block ×3, first 2 shown]
	global_store_b128 v[28:29], v[4:7], off
	v_add_co_u32 v4, vcc_lo, v34, s6
	v_add_co_ci_u32_e32 v5, vcc_lo, s3, v35, vcc_lo
	s_delay_alu instid0(VALU_DEP_2) | instskip(NEXT) | instid1(VALU_DEP_2)
	v_add_co_u32 v6, vcc_lo, v4, s6
	v_add_co_ci_u32_e32 v7, vcc_lo, s3, v5, vcc_lo
	s_delay_alu instid0(VALU_DEP_2) | instskip(NEXT) | instid1(VALU_DEP_2)
	v_add_co_u32 v28, vcc_lo, v6, s6
	v_add_co_ci_u32_e32 v29, vcc_lo, s3, v7, vcc_lo
	global_store_b128 v[30:31], v[0:3], off
	global_store_b128 v[32:33], v[8:11], off
	;; [unrolled: 1-line block ×6, first 2 shown]
.LBB0_2:
	s_nop 0
	s_sendmsg sendmsg(MSG_DEALLOC_VGPRS)
	s_endpgm
	.section	.rodata,"a",@progbits
	.p2align	6, 0x0
	.amdhsa_kernel bluestein_single_back_len1875_dim1_dp_op_CI_CI
		.amdhsa_group_segment_fixed_size 60000
		.amdhsa_private_segment_fixed_size 468
		.amdhsa_kernarg_size 104
		.amdhsa_user_sgpr_count 15
		.amdhsa_user_sgpr_dispatch_ptr 0
		.amdhsa_user_sgpr_queue_ptr 0
		.amdhsa_user_sgpr_kernarg_segment_ptr 1
		.amdhsa_user_sgpr_dispatch_id 0
		.amdhsa_user_sgpr_private_segment_size 0
		.amdhsa_wavefront_size32 1
		.amdhsa_uses_dynamic_stack 0
		.amdhsa_enable_private_segment 1
		.amdhsa_system_sgpr_workgroup_id_x 1
		.amdhsa_system_sgpr_workgroup_id_y 0
		.amdhsa_system_sgpr_workgroup_id_z 0
		.amdhsa_system_sgpr_workgroup_info 0
		.amdhsa_system_vgpr_workitem_id 0
		.amdhsa_next_free_vgpr 256
		.amdhsa_next_free_sgpr 20
		.amdhsa_reserve_vcc 1
		.amdhsa_float_round_mode_32 0
		.amdhsa_float_round_mode_16_64 0
		.amdhsa_float_denorm_mode_32 3
		.amdhsa_float_denorm_mode_16_64 3
		.amdhsa_dx10_clamp 1
		.amdhsa_ieee_mode 1
		.amdhsa_fp16_overflow 0
		.amdhsa_workgroup_processor_mode 1
		.amdhsa_memory_ordered 1
		.amdhsa_forward_progress 0
		.amdhsa_shared_vgpr_count 0
		.amdhsa_exception_fp_ieee_invalid_op 0
		.amdhsa_exception_fp_denorm_src 0
		.amdhsa_exception_fp_ieee_div_zero 0
		.amdhsa_exception_fp_ieee_overflow 0
		.amdhsa_exception_fp_ieee_underflow 0
		.amdhsa_exception_fp_ieee_inexact 0
		.amdhsa_exception_int_div_zero 0
	.end_amdhsa_kernel
	.text
.Lfunc_end0:
	.size	bluestein_single_back_len1875_dim1_dp_op_CI_CI, .Lfunc_end0-bluestein_single_back_len1875_dim1_dp_op_CI_CI
                                        ; -- End function
	.section	.AMDGPU.csdata,"",@progbits
; Kernel info:
; codeLenInByte = 25552
; NumSgprs: 22
; NumVgprs: 256
; ScratchSize: 468
; MemoryBound: 0
; FloatMode: 240
; IeeeMode: 1
; LDSByteSize: 60000 bytes/workgroup (compile time only)
; SGPRBlocks: 2
; VGPRBlocks: 31
; NumSGPRsForWavesPerEU: 22
; NumVGPRsForWavesPerEU: 256
; Occupancy: 4
; WaveLimiterHint : 1
; COMPUTE_PGM_RSRC2:SCRATCH_EN: 1
; COMPUTE_PGM_RSRC2:USER_SGPR: 15
; COMPUTE_PGM_RSRC2:TRAP_HANDLER: 0
; COMPUTE_PGM_RSRC2:TGID_X_EN: 1
; COMPUTE_PGM_RSRC2:TGID_Y_EN: 0
; COMPUTE_PGM_RSRC2:TGID_Z_EN: 0
; COMPUTE_PGM_RSRC2:TIDIG_COMP_CNT: 0
	.text
	.p2alignl 7, 3214868480
	.fill 96, 4, 3214868480
	.type	__hip_cuid_8b610220f62acc08,@object ; @__hip_cuid_8b610220f62acc08
	.section	.bss,"aw",@nobits
	.globl	__hip_cuid_8b610220f62acc08
__hip_cuid_8b610220f62acc08:
	.byte	0                               ; 0x0
	.size	__hip_cuid_8b610220f62acc08, 1

	.ident	"AMD clang version 19.0.0git (https://github.com/RadeonOpenCompute/llvm-project roc-6.4.0 25133 c7fe45cf4b819c5991fe208aaa96edf142730f1d)"
	.section	".note.GNU-stack","",@progbits
	.addrsig
	.addrsig_sym __hip_cuid_8b610220f62acc08
	.amdgpu_metadata
---
amdhsa.kernels:
  - .args:
      - .actual_access:  read_only
        .address_space:  global
        .offset:         0
        .size:           8
        .value_kind:     global_buffer
      - .actual_access:  read_only
        .address_space:  global
        .offset:         8
        .size:           8
        .value_kind:     global_buffer
      - .actual_access:  read_only
        .address_space:  global
        .offset:         16
        .size:           8
        .value_kind:     global_buffer
      - .actual_access:  read_only
        .address_space:  global
        .offset:         24
        .size:           8
        .value_kind:     global_buffer
      - .actual_access:  read_only
        .address_space:  global
        .offset:         32
        .size:           8
        .value_kind:     global_buffer
      - .offset:         40
        .size:           8
        .value_kind:     by_value
      - .address_space:  global
        .offset:         48
        .size:           8
        .value_kind:     global_buffer
      - .address_space:  global
        .offset:         56
        .size:           8
        .value_kind:     global_buffer
      - .address_space:  global
        .offset:         64
        .size:           8
        .value_kind:     global_buffer
      - .address_space:  global
        .offset:         72
        .size:           8
        .value_kind:     global_buffer
      - .offset:         80
        .size:           4
        .value_kind:     by_value
      - .address_space:  global
        .offset:         88
        .size:           8
        .value_kind:     global_buffer
      - .address_space:  global
        .offset:         96
        .size:           8
        .value_kind:     global_buffer
    .group_segment_fixed_size: 60000
    .kernarg_segment_align: 8
    .kernarg_segment_size: 104
    .language:       OpenCL C
    .language_version:
      - 2
      - 0
    .max_flat_workgroup_size: 250
    .name:           bluestein_single_back_len1875_dim1_dp_op_CI_CI
    .private_segment_fixed_size: 468
    .sgpr_count:     22
    .sgpr_spill_count: 0
    .symbol:         bluestein_single_back_len1875_dim1_dp_op_CI_CI.kd
    .uniform_work_group_size: 1
    .uses_dynamic_stack: false
    .vgpr_count:     256
    .vgpr_spill_count: 116
    .wavefront_size: 32
    .workgroup_processor_mode: 1
amdhsa.target:   amdgcn-amd-amdhsa--gfx1100
amdhsa.version:
  - 1
  - 2
...

	.end_amdgpu_metadata
